;; amdgpu-corpus repo=ROCm/rocFFT kind=compiled arch=gfx1030 opt=O3
	.text
	.amdgcn_target "amdgcn-amd-amdhsa--gfx1030"
	.amdhsa_code_object_version 6
	.protected	bluestein_single_back_len1875_dim1_dp_op_CI_CI ; -- Begin function bluestein_single_back_len1875_dim1_dp_op_CI_CI
	.globl	bluestein_single_back_len1875_dim1_dp_op_CI_CI
	.p2align	8
	.type	bluestein_single_back_len1875_dim1_dp_op_CI_CI,@function
bluestein_single_back_len1875_dim1_dp_op_CI_CI: ; @bluestein_single_back_len1875_dim1_dp_op_CI_CI
; %bb.0:
	s_load_dwordx4 s[12:15], s[4:5], 0x28
	v_mul_u32_u24_e32 v1, 0x20d, v0
	s_mov_b64 s[22:23], s[2:3]
	s_mov_b64 s[20:21], s[0:1]
	v_mov_b32_e32 v2, 0
	s_add_u32 s20, s20, s7
	v_lshrrev_b32_e32 v3, 16, v1
	s_addc_u32 s21, s21, 0
	s_mov_b32 s0, exec_lo
	v_lshl_add_u32 v1, s6, 1, v3
	s_waitcnt lgkmcnt(0)
	v_cmpx_gt_u64_e64 s[12:13], v[1:2]
	s_cbranch_execz .LBB0_2
; %bb.1:
	s_clause 0x2
	s_load_dwordx4 s[8:11], s[4:5], 0x0
	s_load_dwordx4 s[16:19], s[4:5], 0x18
	s_load_dwordx2 s[12:13], s[4:5], 0x38
	v_and_b32_e32 v2, 1, v3
	v_cmp_eq_u32_e32 vcc_lo, 1, v2
	v_cndmask_b32_e64 v213, 0, 0x7530, vcc_lo
	s_waitcnt lgkmcnt(0)
	s_load_dwordx4 s[0:3], s[18:19], 0x0
	s_waitcnt lgkmcnt(0)
	v_mad_u64_u32 v[6:7], null, s2, v1, 0
	v_mov_b32_e32 v2, v7
	v_mad_u64_u32 v[4:5], null, s3, v1, v[2:3]
	v_mov_b32_e32 v7, v4
	buffer_store_dword v6, off, s[20:23], 0 offset:160 ; 4-byte Folded Spill
	buffer_store_dword v7, off, s[20:23], 0 offset:164 ; 4-byte Folded Spill
	s_load_dwordx4 s[4:7], s[16:17], 0x0
	s_mov_b32 s17, 0xbfebb67a
	s_waitcnt lgkmcnt(0)
	v_mad_u64_u32 v[4:5], null, s6, v1, 0
	s_mul_hi_u32 s3, s4, 0x1770
	v_mov_b32_e32 v2, v5
	v_mad_u64_u32 v[1:2], null, s7, v1, v[2:3]
	s_mov_b32 s7, 0xbfe2cf23
	v_mov_b32_e32 v5, v1
	v_mul_lo_u16 v1, 0x7d, v3
	v_sub_nc_u16 v58, v0, v1
	v_and_b32_e32 v3, 0xffff, v58
	v_mov_b32_e32 v6, v3
	v_mad_u64_u32 v[0:1], null, s4, v3, 0
	v_lshlrev_b32_e32 v10, 4, v6
	v_mov_b32_e32 v11, v6
	v_mad_u64_u32 v[1:2], null, s5, v3, v[1:2]
	global_load_dwordx4 v[12:15], v10, s[8:9]
	v_lshlrev_b64 v[2:3], 4, v[4:5]
	v_add_co_u32 v41, s2, s8, v10
	v_add_co_ci_u32_e64 v232, null, s9, 0, s2
	v_lshlrev_b64 v[0:1], 4, v[0:1]
	v_add_co_u32 v2, vcc_lo, s14, v2
	v_add_co_ci_u32_e32 v3, vcc_lo, s15, v3, vcc_lo
	s_mul_i32 s2, s5, 0x1770
	v_add_co_u32 v8, vcc_lo, v2, v0
	v_add_co_ci_u32_e32 v9, vcc_lo, v3, v1, vcc_lo
	v_add_nc_u32_e32 v40, v213, v10
	s_add_i32 s2, s3, s2
	s_mul_i32 s3, s4, 0x1770
	global_load_dwordx4 v[0:3], v[8:9], off
	v_add_co_u32 v8, vcc_lo, v8, s3
	v_add_co_ci_u32_e32 v9, vcc_lo, s2, v9, vcc_lo
	s_mulk_i32 s5, 0xaa10
	v_add_co_u32 v212, null, 0x7d, v11
	s_sub_i32 s5, s5, s4
	s_mov_b32 s15, 0xbfee6f0e
	s_waitcnt vmcnt(1)
	buffer_store_dword v12, off, s[20:23], 0 offset:168 ; 4-byte Folded Spill
	buffer_store_dword v13, off, s[20:23], 0 offset:172 ; 4-byte Folded Spill
	;; [unrolled: 1-line block ×4, first 2 shown]
	v_and_b32_e32 v59, 0xff, v212
	s_waitcnt vmcnt(0)
	v_mul_f64 v[4:5], v[2:3], v[14:15]
	v_fma_f64 v[4:5], v[0:1], v[12:13], v[4:5]
	v_mul_f64 v[0:1], v[0:1], v[14:15]
	v_fma_f64 v[6:7], v[2:3], v[12:13], -v[0:1]
	global_load_dwordx4 v[0:3], v[8:9], off
	ds_write_b128 v40, v[4:7]
	v_add_co_u32 v4, vcc_lo, 0x1000, v41
	v_add_co_ci_u32_e32 v5, vcc_lo, 0, v232, vcc_lo
	v_add_co_u32 v8, vcc_lo, v8, s3
	v_add_co_ci_u32_e32 v9, vcc_lo, s2, v9, vcc_lo
	global_load_dwordx4 v[12:15], v[4:5], off offset:1904
	s_waitcnt vmcnt(0)
	buffer_store_dword v12, off, s[20:23], 0 offset:184 ; 4-byte Folded Spill
	buffer_store_dword v13, off, s[20:23], 0 offset:188 ; 4-byte Folded Spill
	;; [unrolled: 1-line block ×4, first 2 shown]
	v_mul_f64 v[4:5], v[2:3], v[14:15]
	v_fma_f64 v[4:5], v[0:1], v[12:13], v[4:5]
	v_mul_f64 v[0:1], v[0:1], v[14:15]
	v_fma_f64 v[6:7], v[2:3], v[12:13], -v[0:1]
	global_load_dwordx4 v[0:3], v[8:9], off
	ds_write_b128 v40, v[4:7] offset:6000
	v_add_co_u32 v4, vcc_lo, 0x2800, v41
	v_add_co_ci_u32_e32 v5, vcc_lo, 0, v232, vcc_lo
	v_add_co_u32 v8, vcc_lo, v8, s3
	v_add_co_ci_u32_e32 v9, vcc_lo, s2, v9, vcc_lo
	global_load_dwordx4 v[12:15], v[4:5], off offset:1760
	s_waitcnt vmcnt(0)
	buffer_store_dword v12, off, s[20:23], 0 offset:200 ; 4-byte Folded Spill
	buffer_store_dword v13, off, s[20:23], 0 offset:204 ; 4-byte Folded Spill
	;; [unrolled: 1-line block ×4, first 2 shown]
	v_mul_f64 v[4:5], v[2:3], v[14:15]
	v_fma_f64 v[4:5], v[0:1], v[12:13], v[4:5]
	v_mul_f64 v[0:1], v[0:1], v[14:15]
	v_fma_f64 v[6:7], v[2:3], v[12:13], -v[0:1]
	global_load_dwordx4 v[0:3], v[8:9], off
	ds_write_b128 v40, v[4:7] offset:12000
	v_add_co_u32 v4, vcc_lo, 0x4000, v41
	v_add_co_ci_u32_e32 v5, vcc_lo, 0, v232, vcc_lo
	v_add_co_u32 v8, vcc_lo, v8, s3
	v_add_co_ci_u32_e32 v9, vcc_lo, s2, v9, vcc_lo
	global_load_dwordx4 v[12:15], v[4:5], off offset:1616
	s_waitcnt vmcnt(0)
	buffer_store_dword v12, off, s[20:23], 0 offset:216 ; 4-byte Folded Spill
	buffer_store_dword v13, off, s[20:23], 0 offset:220 ; 4-byte Folded Spill
	;; [unrolled: 1-line block ×4, first 2 shown]
	v_mul_f64 v[4:5], v[2:3], v[14:15]
	v_fma_f64 v[4:5], v[0:1], v[12:13], v[4:5]
	v_mul_f64 v[0:1], v[0:1], v[14:15]
	v_fma_f64 v[6:7], v[2:3], v[12:13], -v[0:1]
	global_load_dwordx4 v[0:3], v[8:9], off
	v_mad_u64_u32 v[8:9], null, 0xffffaa10, s4, v[8:9]
	v_add_nc_u32_e32 v9, s5, v9
	ds_write_b128 v40, v[4:7] offset:18000
	v_add_co_u32 v4, vcc_lo, 0x5800, v41
	v_add_co_ci_u32_e32 v5, vcc_lo, 0, v232, vcc_lo
	global_load_dwordx4 v[12:15], v[4:5], off offset:1472
	s_waitcnt vmcnt(0)
	buffer_store_dword v12, off, s[20:23], 0 offset:232 ; 4-byte Folded Spill
	buffer_store_dword v13, off, s[20:23], 0 offset:236 ; 4-byte Folded Spill
	;; [unrolled: 1-line block ×4, first 2 shown]
	v_mul_f64 v[4:5], v[2:3], v[14:15]
	v_fma_f64 v[4:5], v[0:1], v[12:13], v[4:5]
	v_mul_f64 v[0:1], v[0:1], v[14:15]
	v_mov_b32_e32 v14, v11
	v_mov_b32_e32 v208, v14
	v_lshlrev_b32_e32 v220, 5, v14
	v_add_co_u32 v57, null, 0xfa, v14
	v_fma_f64 v[6:7], v[2:3], v[12:13], -v[0:1]
	ds_write_b128 v40, v[4:7] offset:24000
	global_load_dwordx4 v[0:3], v[8:9], off
	global_load_dwordx4 v[10:13], v10, s[8:9] offset:2000
	v_add_co_u32 v8, vcc_lo, v8, s3
	v_add_co_ci_u32_e32 v9, vcc_lo, s2, v9, vcc_lo
	s_mov_b32 s8, 0x4755a5e
	s_mov_b32 s9, 0x3fe2cf23
	;; [unrolled: 1-line block ×3, first 2 shown]
	s_waitcnt vmcnt(0)
	buffer_store_dword v10, off, s[20:23], 0 offset:80 ; 4-byte Folded Spill
	buffer_store_dword v11, off, s[20:23], 0 offset:84 ; 4-byte Folded Spill
	buffer_store_dword v12, off, s[20:23], 0 offset:88 ; 4-byte Folded Spill
	buffer_store_dword v13, off, s[20:23], 0 offset:92 ; 4-byte Folded Spill
	v_mul_f64 v[4:5], v[2:3], v[12:13]
	v_fma_f64 v[4:5], v[0:1], v[10:11], v[4:5]
	v_mul_f64 v[0:1], v[0:1], v[12:13]
	v_fma_f64 v[6:7], v[2:3], v[10:11], -v[0:1]
	global_load_dwordx4 v[0:3], v[8:9], off
	ds_write_b128 v40, v[4:7] offset:2000
	v_add_co_u32 v4, vcc_lo, 0x1800, v41
	v_add_co_ci_u32_e32 v5, vcc_lo, 0, v232, vcc_lo
	v_add_co_u32 v8, vcc_lo, v8, s3
	v_add_co_ci_u32_e32 v9, vcc_lo, s2, v9, vcc_lo
	global_load_dwordx4 v[10:13], v[4:5], off offset:1856
	s_waitcnt vmcnt(0)
	buffer_store_dword v10, off, s[20:23], 0 offset:96 ; 4-byte Folded Spill
	buffer_store_dword v11, off, s[20:23], 0 offset:100 ; 4-byte Folded Spill
	buffer_store_dword v12, off, s[20:23], 0 offset:104 ; 4-byte Folded Spill
	buffer_store_dword v13, off, s[20:23], 0 offset:108 ; 4-byte Folded Spill
	v_mul_f64 v[4:5], v[2:3], v[12:13]
	v_fma_f64 v[4:5], v[0:1], v[10:11], v[4:5]
	v_mul_f64 v[0:1], v[0:1], v[12:13]
	v_fma_f64 v[6:7], v[2:3], v[10:11], -v[0:1]
	global_load_dwordx4 v[0:3], v[8:9], off
	ds_write_b128 v40, v[4:7] offset:8000
	v_add_co_u32 v4, vcc_lo, 0x3000, v41
	v_add_co_ci_u32_e32 v5, vcc_lo, 0, v232, vcc_lo
	v_add_co_u32 v8, vcc_lo, v8, s3
	v_add_co_ci_u32_e32 v9, vcc_lo, s2, v9, vcc_lo
	global_load_dwordx4 v[10:13], v[4:5], off offset:1712
	;; [unrolled: 16-line block ×3, first 2 shown]
	s_waitcnt vmcnt(0)
	buffer_store_dword v10, off, s[20:23], 0 offset:128 ; 4-byte Folded Spill
	buffer_store_dword v11, off, s[20:23], 0 offset:132 ; 4-byte Folded Spill
	;; [unrolled: 1-line block ×4, first 2 shown]
	v_mul_f64 v[4:5], v[2:3], v[12:13]
	v_fma_f64 v[4:5], v[0:1], v[10:11], v[4:5]
	v_mul_f64 v[0:1], v[0:1], v[12:13]
	v_fma_f64 v[6:7], v[2:3], v[10:11], -v[0:1]
	global_load_dwordx4 v[0:3], v[8:9], off
	v_mad_u64_u32 v[8:9], null, 0xffffaa10, s4, v[8:9]
	v_add_nc_u32_e32 v9, s5, v9
	s_mov_b32 s4, 0x372fe950
	s_mov_b32 s5, 0x3fd3c6ef
	ds_write_b128 v40, v[4:7] offset:20000
	v_add_co_u32 v4, vcc_lo, 0x6000, v41
	v_add_co_ci_u32_e32 v5, vcc_lo, 0, v232, vcc_lo
	global_load_dwordx4 v[10:13], v[4:5], off offset:1424
	s_waitcnt vmcnt(0)
	buffer_store_dword v10, off, s[20:23], 0 offset:144 ; 4-byte Folded Spill
	buffer_store_dword v11, off, s[20:23], 0 offset:148 ; 4-byte Folded Spill
	;; [unrolled: 1-line block ×5, first 2 shown]
	v_mul_f64 v[4:5], v[2:3], v[12:13]
	v_fma_f64 v[4:5], v[0:1], v[10:11], v[4:5]
	v_mul_f64 v[0:1], v[0:1], v[12:13]
	v_fma_f64 v[6:7], v[2:3], v[10:11], -v[0:1]
	global_load_dwordx4 v[0:3], v[8:9], off
	ds_write_b128 v40, v[4:7] offset:26000
	v_add_co_u32 v4, vcc_lo, 0x800, v41
	v_add_co_ci_u32_e32 v5, vcc_lo, 0, v232, vcc_lo
	v_add_co_u32 v8, vcc_lo, v8, s3
	v_add_co_ci_u32_e32 v9, vcc_lo, s2, v9, vcc_lo
	global_load_dwordx4 v[10:13], v[4:5], off offset:1952
	s_waitcnt vmcnt(0)
	buffer_store_dword v10, off, s[20:23], 0 offset:48 ; 4-byte Folded Spill
	buffer_store_dword v11, off, s[20:23], 0 offset:52 ; 4-byte Folded Spill
	buffer_store_dword v12, off, s[20:23], 0 offset:56 ; 4-byte Folded Spill
	buffer_store_dword v13, off, s[20:23], 0 offset:60 ; 4-byte Folded Spill
	v_mul_f64 v[4:5], v[2:3], v[12:13]
	v_fma_f64 v[4:5], v[0:1], v[10:11], v[4:5]
	v_mul_f64 v[0:1], v[0:1], v[12:13]
	v_fma_f64 v[6:7], v[2:3], v[10:11], -v[0:1]
	global_load_dwordx4 v[0:3], v[8:9], off
	ds_write_b128 v40, v[4:7] offset:4000
	v_add_co_u32 v4, vcc_lo, 0x2000, v41
	v_add_co_ci_u32_e32 v5, vcc_lo, 0, v232, vcc_lo
	v_add_co_u32 v8, vcc_lo, v8, s3
	v_add_co_ci_u32_e32 v9, vcc_lo, s2, v9, vcc_lo
	global_load_dwordx4 v[10:13], v[4:5], off offset:1808
	s_waitcnt vmcnt(0)
	buffer_store_dword v10, off, s[20:23], 0 offset:64 ; 4-byte Folded Spill
	buffer_store_dword v11, off, s[20:23], 0 offset:68 ; 4-byte Folded Spill
	buffer_store_dword v12, off, s[20:23], 0 offset:72 ; 4-byte Folded Spill
	buffer_store_dword v13, off, s[20:23], 0 offset:76 ; 4-byte Folded Spill
	;; [unrolled: 16-line block ×3, first 2 shown]
	v_mul_f64 v[4:5], v[2:3], v[12:13]
	v_fma_f64 v[4:5], v[0:1], v[10:11], v[4:5]
	v_mul_f64 v[0:1], v[0:1], v[12:13]
	v_fma_f64 v[6:7], v[2:3], v[10:11], -v[0:1]
	global_load_dwordx4 v[0:3], v[8:9], off
	ds_write_b128 v40, v[4:7] offset:16000
	v_add_co_u32 v4, vcc_lo, 0x5000, v41
	v_add_co_ci_u32_e32 v5, vcc_lo, 0, v232, vcc_lo
	global_load_dwordx4 v[10:13], v[4:5], off offset:1520
	s_waitcnt vmcnt(0)
	buffer_store_dword v10, off, s[20:23], 0 offset:16 ; 4-byte Folded Spill
	buffer_store_dword v11, off, s[20:23], 0 offset:20 ; 4-byte Folded Spill
	;; [unrolled: 1-line block ×4, first 2 shown]
	v_mul_f64 v[4:5], v[2:3], v[12:13]
	v_fma_f64 v[4:5], v[0:1], v[10:11], v[4:5]
	v_mul_f64 v[0:1], v[0:1], v[12:13]
	v_fma_f64 v[6:7], v[2:3], v[10:11], -v[0:1]
	v_add_co_u32 v0, vcc_lo, v8, s3
	v_add_co_ci_u32_e32 v1, vcc_lo, s2, v9, vcc_lo
	s_mov_b32 s2, 0x134454ff
	s_mov_b32 s3, 0x3fee6f0e
	;; [unrolled: 1-line block ×3, first 2 shown]
	global_load_dwordx4 v[0:3], v[0:1], off
	ds_write_b128 v40, v[4:7] offset:22000
	v_add_co_u32 v4, vcc_lo, 0x6800, v41
	v_add_co_ci_u32_e32 v5, vcc_lo, 0, v232, vcc_lo
	global_load_dwordx4 v[6:9], v[4:5], off offset:1376
	s_waitcnt vmcnt(0)
	buffer_store_dword v6, off, s[20:23], 0 ; 4-byte Folded Spill
	buffer_store_dword v7, off, s[20:23], 0 offset:4 ; 4-byte Folded Spill
	buffer_store_dword v8, off, s[20:23], 0 offset:8 ; 4-byte Folded Spill
	;; [unrolled: 1-line block ×3, first 2 shown]
	v_mul_f64 v[4:5], v[2:3], v[8:9]
	v_fma_f64 v[4:5], v[0:1], v[6:7], v[4:5]
	v_mul_f64 v[0:1], v[0:1], v[8:9]
	v_fma_f64 v[6:7], v[2:3], v[6:7], -v[0:1]
	ds_write_b128 v40, v[4:7] offset:28000
	s_waitcnt lgkmcnt(0)
	s_waitcnt_vscnt null, 0x0
	s_barrier
	buffer_gl0_inv
	ds_read_b128 v[28:31], v40
	ds_read_b128 v[42:45], v40 offset:6000
	ds_read_b128 v[46:49], v40 offset:12000
	;; [unrolled: 1-line block ×14, first 2 shown]
	s_waitcnt lgkmcnt(0)
	s_barrier
	buffer_gl0_inv
	v_add_f64 v[54:55], v[28:29], v[42:43]
	v_add_f64 v[68:69], v[42:43], -v[46:47]
	v_add_f64 v[66:67], v[48:49], -v[52:53]
	;; [unrolled: 1-line block ×5, first 2 shown]
	v_add_f64 v[54:55], v[54:55], v[46:47]
	v_add_f64 v[68:69], v[68:69], v[70:71]
	v_add_f64 v[70:71], v[46:47], -v[42:43]
	v_add_f64 v[54:55], v[54:55], v[50:51]
	v_add_f64 v[70:71], v[70:71], v[72:73]
	;; [unrolled: 1-line block ×4, first 2 shown]
	v_add_f64 v[46:47], v[46:47], -v[50:51]
	v_fma_f64 v[54:55], v[54:55], -0.5, v[28:29]
	v_fma_f64 v[64:65], v[62:63], s[2:3], v[54:55]
	v_fma_f64 v[54:55], v[62:63], s[14:15], v[54:55]
	;; [unrolled: 1-line block ×6, first 2 shown]
	v_add_f64 v[54:55], v[42:43], v[84:85]
	v_add_f64 v[42:43], v[42:43], -v[84:85]
	v_fma_f64 v[28:29], v[54:55], -0.5, v[28:29]
	v_fma_f64 v[54:55], v[66:67], s[14:15], v[28:29]
	v_fma_f64 v[28:29], v[66:67], s[2:3], v[28:29]
	v_add_f64 v[66:67], v[86:87], -v[52:53]
	v_fma_f64 v[54:55], v[62:63], s[8:9], v[54:55]
	v_fma_f64 v[28:29], v[62:63], s[6:7], v[28:29]
	;; [unrolled: 1-line block ×4, first 2 shown]
	v_add_f64 v[28:29], v[30:31], v[44:45]
	v_add_f64 v[28:29], v[28:29], v[48:49]
	;; [unrolled: 1-line block ×5, first 2 shown]
	v_fma_f64 v[28:29], v[28:29], -0.5, v[30:31]
	v_fma_f64 v[54:55], v[42:43], s[14:15], v[28:29]
	v_fma_f64 v[28:29], v[42:43], s[2:3], v[28:29]
	;; [unrolled: 1-line block ×3, first 2 shown]
	v_add_f64 v[54:55], v[44:45], -v[48:49]
	v_fma_f64 v[28:29], v[46:47], s[8:9], v[28:29]
	v_add_f64 v[54:55], v[54:55], v[66:67]
	v_fma_f64 v[70:71], v[54:55], s[4:5], v[28:29]
	v_add_f64 v[28:29], v[44:45], v[86:87]
	v_add_f64 v[44:45], v[48:49], -v[44:45]
	v_add_f64 v[48:49], v[52:53], -v[86:87]
	v_fma_f64 v[66:67], v[54:55], s[4:5], v[50:51]
	v_add_f64 v[50:51], v[24:25], -v[20:21]
	v_add_f64 v[54:55], v[20:21], -v[24:25]
	;; [unrolled: 1-line block ×3, first 2 shown]
	v_fma_f64 v[28:29], v[28:29], -0.5, v[30:31]
	v_add_f64 v[44:45], v[44:45], v[48:49]
	v_add_f64 v[48:49], v[32:33], -v[36:37]
	v_add_f64 v[52:53], v[52:53], v[54:55]
	v_fma_f64 v[30:31], v[46:47], s[2:3], v[28:29]
	v_fma_f64 v[28:29], v[46:47], s[14:15], v[28:29]
	v_add_f64 v[46:47], v[38:39], -v[22:23]
	v_add_f64 v[48:49], v[48:49], v[50:51]
	v_fma_f64 v[30:31], v[42:43], s[6:7], v[30:31]
	v_fma_f64 v[28:29], v[42:43], s[8:9], v[28:29]
	v_add_f64 v[42:43], v[34:35], -v[26:27]
	v_fma_f64 v[74:75], v[44:45], s[4:5], v[30:31]
	v_add_f64 v[30:31], v[36:37], v[20:21]
	v_fma_f64 v[78:79], v[44:45], s[4:5], v[28:29]
	v_add_f64 v[28:29], v[80:81], v[32:33]
	v_fma_f64 v[30:31], v[30:31], -0.5, v[80:81]
	v_add_f64 v[28:29], v[28:29], v[36:37]
	v_fma_f64 v[44:45], v[42:43], s[2:3], v[30:31]
	v_fma_f64 v[30:31], v[42:43], s[14:15], v[30:31]
	v_add_f64 v[28:29], v[28:29], v[20:21]
	v_add_f64 v[20:21], v[36:37], -v[20:21]
	v_add_f64 v[36:37], v[34:35], -v[38:39]
	v_fma_f64 v[44:45], v[46:47], s[8:9], v[44:45]
	v_fma_f64 v[30:31], v[46:47], s[6:7], v[30:31]
	v_add_f64 v[28:29], v[28:29], v[24:25]
	v_fma_f64 v[44:45], v[48:49], s[4:5], v[44:45]
	v_fma_f64 v[48:49], v[48:49], s[4:5], v[30:31]
	v_add_f64 v[30:31], v[32:33], v[24:25]
	v_add_f64 v[24:25], v[32:33], -v[24:25]
	v_fma_f64 v[30:31], v[30:31], -0.5, v[80:81]
	v_fma_f64 v[50:51], v[46:47], s[14:15], v[30:31]
	v_fma_f64 v[30:31], v[46:47], s[2:3], v[30:31]
	v_add_f64 v[46:47], v[26:27], -v[22:23]
	v_fma_f64 v[50:51], v[42:43], s[8:9], v[50:51]
	v_fma_f64 v[30:31], v[42:43], s[6:7], v[30:31]
	v_add_f64 v[42:43], v[38:39], v[22:23]
	v_add_f64 v[36:37], v[36:37], v[46:47]
	v_fma_f64 v[80:81], v[52:53], s[4:5], v[50:51]
	v_fma_f64 v[84:85], v[52:53], s[4:5], v[30:31]
	v_fma_f64 v[42:43], v[42:43], -0.5, v[82:83]
	v_add_f64 v[30:31], v[82:83], v[34:35]
	v_fma_f64 v[32:33], v[24:25], s[14:15], v[42:43]
	v_add_f64 v[30:31], v[30:31], v[38:39]
	v_fma_f64 v[32:33], v[20:21], s[6:7], v[32:33]
	v_add_f64 v[30:31], v[30:31], v[22:23]
	v_add_f64 v[22:23], v[22:23], -v[26:27]
	v_fma_f64 v[46:47], v[36:37], s[4:5], v[32:33]
	v_fma_f64 v[32:33], v[24:25], s[2:3], v[42:43]
	v_add_f64 v[30:31], v[30:31], v[26:27]
	v_fma_f64 v[32:33], v[20:21], s[8:9], v[32:33]
	v_fma_f64 v[50:51], v[36:37], s[4:5], v[32:33]
	v_add_f64 v[32:33], v[34:35], v[26:27]
	v_add_f64 v[34:35], v[38:39], -v[34:35]
	v_add_f64 v[26:27], v[10:11], -v[6:7]
	;; [unrolled: 1-line block ×3, first 2 shown]
	v_fma_f64 v[32:33], v[32:33], -0.5, v[82:83]
	v_add_f64 v[22:23], v[34:35], v[22:23]
	v_add_f64 v[34:35], v[14:15], -v[2:3]
	v_fma_f64 v[36:37], v[20:21], s[2:3], v[32:33]
	v_fma_f64 v[20:21], v[20:21], s[14:15], v[32:33]
	v_add_f64 v[32:33], v[8:9], -v[12:13]
	v_fma_f64 v[36:37], v[24:25], s[6:7], v[36:37]
	v_fma_f64 v[20:21], v[24:25], s[8:9], v[20:21]
	;; [unrolled: 1-line block ×4, first 2 shown]
	v_add_f64 v[22:23], v[12:13], v[0:1]
	v_add_f64 v[36:37], v[4:5], -v[0:1]
	v_add_f64 v[20:21], v[16:17], v[8:9]
	v_fma_f64 v[22:23], v[22:23], -0.5, v[16:17]
	v_add_f64 v[32:33], v[32:33], v[36:37]
	v_add_f64 v[20:21], v[20:21], v[12:13]
	v_add_f64 v[36:37], v[12:13], -v[8:9]
	v_fma_f64 v[24:25], v[26:27], s[2:3], v[22:23]
	v_fma_f64 v[22:23], v[26:27], s[14:15], v[22:23]
	v_add_f64 v[20:21], v[20:21], v[0:1]
	v_add_f64 v[0:1], v[12:13], -v[0:1]
	v_add_f64 v[12:13], v[10:11], -v[14:15]
	v_add_f64 v[36:37], v[36:37], v[38:39]
	v_fma_f64 v[24:25], v[34:35], s[8:9], v[24:25]
	v_fma_f64 v[22:23], v[34:35], s[6:7], v[22:23]
	v_add_f64 v[20:21], v[20:21], v[4:5]
	v_fma_f64 v[24:25], v[32:33], s[4:5], v[24:25]
	v_fma_f64 v[32:33], v[32:33], s[4:5], v[22:23]
	v_add_f64 v[22:23], v[8:9], v[4:5]
	v_add_f64 v[4:5], v[8:9], -v[4:5]
	v_fma_f64 v[22:23], v[22:23], -0.5, v[16:17]
	v_fma_f64 v[16:17], v[34:35], s[14:15], v[22:23]
	v_fma_f64 v[22:23], v[34:35], s[2:3], v[22:23]
	;; [unrolled: 1-line block ×4, first 2 shown]
	v_add_f64 v[26:27], v[14:15], v[2:3]
	v_fma_f64 v[16:17], v[36:37], s[4:5], v[16:17]
	v_fma_f64 v[36:37], v[36:37], s[4:5], v[22:23]
	v_fma_f64 v[34:35], v[26:27], -0.5, v[18:19]
	v_add_f64 v[26:27], v[6:7], -v[2:3]
	v_add_f64 v[22:23], v[18:19], v[10:11]
	v_fma_f64 v[8:9], v[4:5], s[14:15], v[34:35]
	v_add_f64 v[12:13], v[12:13], v[26:27]
	v_add_f64 v[22:23], v[22:23], v[14:15]
	v_fma_f64 v[8:9], v[0:1], s[6:7], v[8:9]
	v_add_f64 v[22:23], v[22:23], v[2:3]
	v_add_f64 v[2:3], v[2:3], -v[6:7]
	v_fma_f64 v[26:27], v[12:13], s[4:5], v[8:9]
	v_fma_f64 v[8:9], v[4:5], s[2:3], v[34:35]
	v_add_f64 v[22:23], v[22:23], v[6:7]
	v_fma_f64 v[8:9], v[0:1], s[8:9], v[8:9]
	v_fma_f64 v[34:35], v[12:13], s[4:5], v[8:9]
	v_add_f64 v[8:9], v[10:11], v[6:7]
	v_add_f64 v[10:11], v[14:15], -v[10:11]
	v_fma_f64 v[8:9], v[8:9], -0.5, v[18:19]
	v_add_f64 v[2:3], v[10:11], v[2:3]
	v_fma_f64 v[12:13], v[0:1], s[2:3], v[8:9]
	v_fma_f64 v[0:1], v[0:1], s[14:15], v[8:9]
	;; [unrolled: 1-line block ×6, first 2 shown]
	v_mul_lo_u16 v0, v58, 5
	v_and_b32_e32 v0, 0xffff, v0
	v_lshl_add_u32 v56, v0, 4, v213
	v_mul_u32_u24_e32 v0, 5, v212
	ds_write_b128 v56, v[60:63]
	ds_write_b128 v56, v[64:67] offset:16
	ds_write_b128 v56, v[72:75] offset:32
	;; [unrolled: 1-line block ×4, first 2 shown]
	v_lshl_add_u32 v0, v0, 4, v213
	buffer_store_dword v0, off, s[20:23], 0 offset:252 ; 4-byte Folded Spill
	ds_write_b128 v0, v[28:31]
	ds_write_b128 v0, v[44:47] offset:16
	ds_write_b128 v0, v[80:83] offset:32
	;; [unrolled: 1-line block ×4, first 2 shown]
	v_mul_u32_u24_e32 v0, 5, v57
	v_and_b32_e32 v50, 0xff, v58
	v_mov_b32_e32 v51, 6
	v_lshl_add_u32 v0, v0, 4, v213
	buffer_store_dword v0, off, s[20:23], 0 offset:248 ; 4-byte Folded Spill
	ds_write_b128 v0, v[20:23]
	ds_write_b128 v0, v[24:27] offset:16
	ds_write_b128 v0, v[16:19] offset:32
	;; [unrolled: 1-line block ×4, first 2 shown]
	v_mul_lo_u16 v32, 0xcd, v50
	s_waitcnt lgkmcnt(0)
	s_waitcnt_vscnt null, 0x0
	s_barrier
	buffer_gl0_inv
	ds_read_b128 v[112:115], v40
	ds_read_b128 v[28:31], v40 offset:6000
	ds_read_b128 v[24:27], v40 offset:12000
	ds_read_b128 v[20:23], v40 offset:18000
	ds_read_b128 v[16:19], v40 offset:24000
	ds_read_b128 v[104:107], v40 offset:2000
	ds_read_b128 v[12:15], v40 offset:8000
	ds_read_b128 v[8:11], v40 offset:14000
	ds_read_b128 v[4:7], v40 offset:20000
	ds_read_b128 v[0:3], v40 offset:26000
	ds_read_b128 v[96:99], v40 offset:4000
	ds_read_b128 v[128:131], v40 offset:10000
	ds_read_b128 v[124:127], v40 offset:16000
	ds_read_b128 v[120:123], v40 offset:22000
	ds_read_b128 v[116:119], v40 offset:28000
	v_lshrrev_b16 v52, 10, v32
	v_mul_lo_u16 v32, v52, 5
	v_sub_nc_u16 v54, v58, v32
	v_lshlrev_b32_sdwa v32, v51, v54 dst_sel:DWORD dst_unused:UNUSED_PAD src0_sel:DWORD src1_sel:BYTE_0
	s_clause 0x3
	global_load_dwordx4 v[60:63], v32, s[10:11] offset:48
	global_load_dwordx4 v[64:67], v32, s[10:11] offset:32
	;; [unrolled: 1-line block ×3, first 2 shown]
	global_load_dwordx4 v[80:83], v32, s[10:11]
	s_waitcnt vmcnt(0) lgkmcnt(13)
	v_mul_f64 v[32:33], v[30:31], v[82:83]
	v_fma_f64 v[42:43], v[28:29], v[80:81], -v[32:33]
	v_mul_f64 v[28:29], v[28:29], v[82:83]
	v_fma_f64 v[36:37], v[30:31], v[80:81], v[28:29]
	s_waitcnt lgkmcnt(12)
	v_mul_f64 v[28:29], v[26:27], v[70:71]
	v_fma_f64 v[136:137], v[24:25], v[68:69], -v[28:29]
	v_mul_f64 v[24:25], v[24:25], v[70:71]
	v_fma_f64 v[48:49], v[26:27], v[68:69], v[24:25]
	s_waitcnt lgkmcnt(11)
	;; [unrolled: 5-line block ×3, first 2 shown]
	v_mul_f64 v[20:21], v[18:19], v[62:63]
	v_fma_f64 v[140:141], v[16:17], v[60:61], -v[20:21]
	v_mul_f64 v[16:17], v[16:17], v[62:63]
	v_fma_f64 v[18:19], v[18:19], v[60:61], v[16:17]
	v_mul_lo_u16 v16, 0xcd, v59
	v_lshrrev_b16 v142, 10, v16
	v_mul_lo_u16 v16, v142, 5
	v_sub_nc_u16 v143, v212, v16
	v_lshlrev_b32_sdwa v16, v51, v143 dst_sel:DWORD dst_unused:UNUSED_PAD src0_sel:DWORD src1_sel:BYTE_0
	s_clause 0x3
	global_load_dwordx4 v[72:75], v16, s[10:11] offset:48
	global_load_dwordx4 v[76:79], v16, s[10:11] offset:32
	;; [unrolled: 1-line block ×3, first 2 shown]
	global_load_dwordx4 v[88:91], v16, s[10:11]
	s_waitcnt vmcnt(0) lgkmcnt(8)
	v_mul_f64 v[16:17], v[14:15], v[90:91]
	v_fma_f64 v[28:29], v[12:13], v[88:89], -v[16:17]
	v_mul_f64 v[12:13], v[12:13], v[90:91]
	v_add_f64 v[16:17], v[138:139], -v[140:141]
	v_fma_f64 v[20:21], v[14:15], v[88:89], v[12:13]
	s_waitcnt lgkmcnt(7)
	v_mul_f64 v[12:13], v[10:11], v[86:87]
	v_add_f64 v[14:15], v[136:137], -v[42:43]
	v_fma_f64 v[30:31], v[8:9], v[84:85], -v[12:13]
	v_mul_f64 v[8:9], v[8:9], v[86:87]
	v_add_f64 v[12:13], v[140:141], -v[138:139]
	v_add_f64 v[14:15], v[14:15], v[16:17]
	v_fma_f64 v[24:25], v[10:11], v[84:85], v[8:9]
	s_waitcnt lgkmcnt(6)
	v_mul_f64 v[8:9], v[6:7], v[78:79]
	v_add_f64 v[10:11], v[48:49], -v[38:39]
	v_fma_f64 v[32:33], v[4:5], v[76:77], -v[8:9]
	v_mul_f64 v[4:5], v[4:5], v[78:79]
	v_add_f64 v[8:9], v[42:43], -v[136:137]
	v_fma_f64 v[22:23], v[6:7], v[76:77], v[4:5]
	s_waitcnt lgkmcnt(5)
	v_mul_f64 v[4:5], v[2:3], v[74:75]
	v_add_f64 v[6:7], v[36:37], -v[18:19]
	v_add_f64 v[12:13], v[8:9], v[12:13]
	v_fma_f64 v[34:35], v[0:1], v[72:73], -v[4:5]
	v_mul_f64 v[0:1], v[0:1], v[74:75]
	v_fma_f64 v[26:27], v[2:3], v[72:73], v[0:1]
	v_mov_b32_e32 v0, 0xcccd
	v_mov_b32_e32 v1, 4
	v_add_f64 v[2:3], v[136:137], v[138:139]
	v_mul_u32_u24_sdwa v0, v57, v0 dst_sel:DWORD dst_unused:UNUSED_PAD src0_sel:WORD_0 src1_sel:DWORD
	v_lshrrev_b32_e32 v144, 18, v0
	v_mul_lo_u16 v0, v144, 5
	v_sub_nc_u16 v145, v57, v0
	v_fma_f64 v[2:3], v[2:3], -0.5, v[112:113]
	v_lshlrev_b16 v0, 2, v145
	v_lshlrev_b32_sdwa v0, v1, v0 dst_sel:DWORD dst_unused:UNUSED_PAD src0_sel:DWORD src1_sel:WORD_0
	s_clause 0x3
	global_load_dwordx4 v[92:95], v0, s[10:11] offset:48
	global_load_dwordx4 v[100:103], v0, s[10:11] offset:32
	global_load_dwordx4 v[108:111], v0, s[10:11] offset:16
	global_load_dwordx4 v[132:135], v0, s[10:11]
	s_waitcnt vmcnt(0) lgkmcnt(0)
	s_barrier
	buffer_gl0_inv
	v_fma_f64 v[4:5], v[6:7], s[2:3], v[2:3]
	v_fma_f64 v[2:3], v[6:7], s[14:15], v[2:3]
	v_fma_f64 v[4:5], v[10:11], s[8:9], v[4:5]
	v_fma_f64 v[2:3], v[10:11], s[6:7], v[2:3]
	v_fma_f64 v[8:9], v[12:13], s[4:5], v[4:5]
	v_fma_f64 v[4:5], v[12:13], s[4:5], v[2:3]
	v_add_f64 v[2:3], v[42:43], v[140:141]
	v_fma_f64 v[2:3], v[2:3], -0.5, v[112:113]
	v_fma_f64 v[12:13], v[10:11], s[14:15], v[2:3]
	v_fma_f64 v[2:3], v[10:11], s[2:3], v[2:3]
	;; [unrolled: 1-line block ×4, first 2 shown]
	v_add_f64 v[6:7], v[48:49], v[38:39]
	v_fma_f64 v[12:13], v[14:15], s[4:5], v[12:13]
	v_fma_f64 v[16:17], v[14:15], s[4:5], v[2:3]
	v_fma_f64 v[6:7], v[6:7], -0.5, v[114:115]
	v_add_f64 v[2:3], v[114:115], v[36:37]
	v_add_f64 v[14:15], v[36:37], -v[48:49]
	v_add_f64 v[2:3], v[2:3], v[48:49]
	v_add_f64 v[2:3], v[2:3], v[38:39]
	;; [unrolled: 1-line block ×3, first 2 shown]
	v_mul_f64 v[0:1], v[130:131], v[134:135]
	v_fma_f64 v[146:147], v[128:129], v[132:133], -v[0:1]
	v_mul_f64 v[0:1], v[128:129], v[134:135]
	v_fma_f64 v[44:45], v[130:131], v[132:133], v[0:1]
	v_mul_f64 v[0:1], v[126:127], v[110:111]
	v_fma_f64 v[130:131], v[124:125], v[108:109], -v[0:1]
	v_mul_f64 v[0:1], v[124:125], v[110:111]
	v_fma_f64 v[124:125], v[126:127], v[108:109], v[0:1]
	v_mul_f64 v[0:1], v[122:123], v[102:103]
	v_fma_f64 v[148:149], v[120:121], v[100:101], -v[0:1]
	v_mul_f64 v[0:1], v[120:121], v[102:103]
	v_add_f64 v[120:121], v[32:33], -v[34:35]
	v_fma_f64 v[46:47], v[122:123], v[100:101], v[0:1]
	v_mul_f64 v[0:1], v[118:119], v[94:95]
	v_fma_f64 v[122:123], v[116:117], v[92:93], -v[0:1]
	v_mul_f64 v[0:1], v[116:117], v[94:95]
	v_fma_f64 v[116:117], v[118:119], v[92:93], v[0:1]
	v_add_f64 v[0:1], v[112:113], v[42:43]
	v_add_f64 v[42:43], v[42:43], -v[140:141]
	v_add_f64 v[112:113], v[136:137], -v[138:139]
	;; [unrolled: 1-line block ×3, first 2 shown]
	v_add_f64 v[0:1], v[0:1], v[136:137]
	v_fma_f64 v[10:11], v[42:43], s[14:15], v[6:7]
	v_fma_f64 v[6:7], v[42:43], s[2:3], v[6:7]
	v_add_f64 v[14:15], v[14:15], v[118:119]
	v_add_f64 v[118:119], v[34:35], -v[32:33]
	v_add_f64 v[0:1], v[0:1], v[138:139]
	v_fma_f64 v[10:11], v[112:113], s[6:7], v[10:11]
	v_fma_f64 v[6:7], v[112:113], s[8:9], v[6:7]
	v_add_f64 v[0:1], v[0:1], v[140:141]
	v_fma_f64 v[10:11], v[14:15], s[4:5], v[10:11]
	v_fma_f64 v[6:7], v[14:15], s[4:5], v[6:7]
	v_add_f64 v[14:15], v[36:37], v[18:19]
	v_add_f64 v[36:37], v[48:49], -v[36:37]
	v_add_f64 v[18:19], v[38:39], -v[18:19]
	v_add_f64 v[38:39], v[30:31], v[32:33]
	v_fma_f64 v[114:115], v[14:15], -0.5, v[114:115]
	v_add_f64 v[18:19], v[36:37], v[18:19]
	v_fma_f64 v[38:39], v[38:39], -0.5, v[104:105]
	v_fma_f64 v[14:15], v[112:113], s[2:3], v[114:115]
	v_fma_f64 v[36:37], v[112:113], s[14:15], v[114:115]
	v_add_f64 v[114:115], v[24:25], -v[22:23]
	v_add_f64 v[112:113], v[28:29], -v[30:31]
	v_fma_f64 v[14:15], v[42:43], s[6:7], v[14:15]
	v_fma_f64 v[36:37], v[42:43], s[8:9], v[36:37]
	v_add_f64 v[42:43], v[20:21], -v[26:27]
	v_add_f64 v[118:119], v[112:113], v[118:119]
	v_fma_f64 v[14:15], v[18:19], s[4:5], v[14:15]
	v_fma_f64 v[18:19], v[18:19], s[4:5], v[36:37]
	;; [unrolled: 1-line block ×4, first 2 shown]
	v_add_f64 v[36:37], v[104:105], v[28:29]
	v_fma_f64 v[48:49], v[114:115], s[8:9], v[48:49]
	v_fma_f64 v[38:39], v[114:115], s[6:7], v[38:39]
	v_add_f64 v[36:37], v[36:37], v[30:31]
	v_fma_f64 v[112:113], v[118:119], s[4:5], v[48:49]
	v_fma_f64 v[118:119], v[118:119], s[4:5], v[38:39]
	v_add_f64 v[38:39], v[28:29], v[34:35]
	v_add_f64 v[36:37], v[36:37], v[32:33]
	v_fma_f64 v[38:39], v[38:39], -0.5, v[104:105]
	v_add_f64 v[104:105], v[30:31], -v[28:29]
	v_add_f64 v[28:29], v[28:29], -v[34:35]
	v_add_f64 v[36:37], v[36:37], v[34:35]
	v_add_f64 v[30:31], v[30:31], -v[32:33]
	v_fma_f64 v[48:49], v[114:115], s[14:15], v[38:39]
	v_fma_f64 v[38:39], v[114:115], s[2:3], v[38:39]
	v_add_f64 v[120:121], v[104:105], v[120:121]
	v_fma_f64 v[48:49], v[42:43], s[8:9], v[48:49]
	v_fma_f64 v[38:39], v[42:43], s[6:7], v[38:39]
	v_add_f64 v[42:43], v[24:25], v[22:23]
	v_fma_f64 v[104:105], v[120:121], s[4:5], v[48:49]
	v_add_f64 v[48:49], v[26:27], -v[22:23]
	v_fma_f64 v[42:43], v[42:43], -0.5, v[106:107]
	v_fma_f64 v[126:127], v[120:121], s[4:5], v[38:39]
	v_add_f64 v[38:39], v[106:107], v[20:21]
	v_fma_f64 v[34:35], v[28:29], s[14:15], v[42:43]
	v_add_f64 v[38:39], v[38:39], v[24:25]
	v_fma_f64 v[32:33], v[30:31], s[6:7], v[34:35]
	v_add_f64 v[34:35], v[20:21], -v[24:25]
	v_add_f64 v[38:39], v[38:39], v[22:23]
	v_add_f64 v[22:23], v[22:23], -v[26:27]
	v_add_f64 v[34:35], v[34:35], v[48:49]
	v_add_f64 v[38:39], v[38:39], v[26:27]
	v_add_f64 v[48:49], v[146:147], -v[122:123]
	v_fma_f64 v[114:115], v[34:35], s[4:5], v[32:33]
	v_fma_f64 v[32:33], v[28:29], s[2:3], v[42:43]
	v_add_f64 v[42:43], v[148:149], -v[122:123]
	v_fma_f64 v[32:33], v[30:31], s[8:9], v[32:33]
	v_fma_f64 v[120:121], v[34:35], s[4:5], v[32:33]
	v_add_f64 v[32:33], v[20:21], v[26:27]
	v_add_f64 v[20:21], v[24:25], -v[20:21]
	v_add_f64 v[26:27], v[44:45], -v[116:117]
	v_fma_f64 v[32:33], v[32:33], -0.5, v[106:107]
	v_add_f64 v[20:21], v[20:21], v[22:23]
	v_fma_f64 v[22:23], v[30:31], s[14:15], v[32:33]
	v_fma_f64 v[34:35], v[30:31], s[2:3], v[32:33]
	v_add_f64 v[30:31], v[124:125], -v[46:47]
	v_add_f64 v[32:33], v[122:123], -v[148:149]
	v_fma_f64 v[22:23], v[28:29], s[8:9], v[22:23]
	v_fma_f64 v[34:35], v[28:29], s[6:7], v[34:35]
	v_add_f64 v[28:29], v[146:147], -v[130:131]
	v_fma_f64 v[128:129], v[20:21], s[4:5], v[22:23]
	v_add_f64 v[22:23], v[130:131], v[148:149]
	v_add_f64 v[28:29], v[28:29], v[32:33]
	v_fma_f64 v[106:107], v[20:21], s[4:5], v[34:35]
	v_add_f64 v[20:21], v[96:97], v[146:147]
	v_add_f64 v[34:35], v[130:131], -v[146:147]
	v_fma_f64 v[22:23], v[22:23], -0.5, v[96:97]
	v_add_f64 v[20:21], v[20:21], v[130:131]
	v_add_f64 v[34:35], v[34:35], v[42:43]
	v_fma_f64 v[24:25], v[26:27], s[2:3], v[22:23]
	v_fma_f64 v[22:23], v[26:27], s[14:15], v[22:23]
	v_add_f64 v[20:21], v[20:21], v[148:149]
	v_fma_f64 v[24:25], v[30:31], s[8:9], v[24:25]
	v_fma_f64 v[22:23], v[30:31], s[6:7], v[22:23]
	;; [unrolled: 3-line block ×3, first 2 shown]
	v_add_f64 v[22:23], v[146:147], v[122:123]
	v_add_f64 v[122:123], v[116:117], -v[46:47]
	v_fma_f64 v[22:23], v[22:23], -0.5, v[96:97]
	v_add_f64 v[96:97], v[130:131], -v[148:149]
	v_fma_f64 v[32:33], v[30:31], s[14:15], v[22:23]
	v_fma_f64 v[22:23], v[30:31], s[2:3], v[22:23]
	;; [unrolled: 1-line block ×4, first 2 shown]
	v_add_f64 v[26:27], v[124:125], v[46:47]
	v_fma_f64 v[32:33], v[34:35], s[4:5], v[32:33]
	v_fma_f64 v[42:43], v[34:35], s[4:5], v[22:23]
	v_fma_f64 v[30:31], v[26:27], -0.5, v[98:99]
	v_add_f64 v[34:35], v[44:45], -v[124:125]
	v_add_f64 v[22:23], v[98:99], v[44:45]
	v_fma_f64 v[26:27], v[48:49], s[14:15], v[30:31]
	v_fma_f64 v[30:31], v[48:49], s[2:3], v[30:31]
	v_add_f64 v[34:35], v[34:35], v[122:123]
	v_add_f64 v[22:23], v[22:23], v[124:125]
	v_fma_f64 v[26:27], v[96:97], s[6:7], v[26:27]
	v_fma_f64 v[30:31], v[96:97], s[8:9], v[30:31]
	v_add_f64 v[22:23], v[22:23], v[46:47]
	v_add_f64 v[46:47], v[46:47], -v[116:117]
	v_fma_f64 v[26:27], v[34:35], s[4:5], v[26:27]
	v_fma_f64 v[30:31], v[34:35], s[4:5], v[30:31]
	v_add_f64 v[34:35], v[44:45], v[116:117]
	v_add_f64 v[44:45], v[124:125], -v[44:45]
	v_add_f64 v[22:23], v[22:23], v[116:117]
	v_fma_f64 v[98:99], v[34:35], -0.5, v[98:99]
	v_add_f64 v[44:45], v[44:45], v[46:47]
	v_fma_f64 v[34:35], v[96:97], s[2:3], v[98:99]
	v_fma_f64 v[46:47], v[96:97], s[14:15], v[98:99]
	;; [unrolled: 1-line block ×6, first 2 shown]
	v_mov_b32_e32 v46, 25
	v_mul_u32_u24_sdwa v47, v52, v46 dst_sel:DWORD dst_unused:UNUSED_PAD src0_sel:WORD_0 src1_sel:DWORD
	v_add_nc_u32_sdwa v47, v47, v54 dst_sel:DWORD dst_unused:UNUSED_PAD src0_sel:DWORD src1_sel:BYTE_0
	v_lshl_add_u32 v47, v47, 4, v213
	buffer_store_dword v47, off, s[20:23], 0 offset:264 ; 4-byte Folded Spill
	ds_write_b128 v47, v[0:3]
	ds_write_b128 v47, v[8:11] offset:80
	ds_write_b128 v47, v[12:15] offset:160
	;; [unrolled: 1-line block ×4, first 2 shown]
	v_mul_u32_u24_sdwa v0, v142, v46 dst_sel:DWORD dst_unused:UNUSED_PAD src0_sel:WORD_0 src1_sel:DWORD
	v_add_nc_u32_sdwa v0, v0, v143 dst_sel:DWORD dst_unused:UNUSED_PAD src0_sel:DWORD src1_sel:BYTE_0
	v_lshl_add_u32 v0, v0, 4, v213
	buffer_store_dword v0, off, s[20:23], 0 offset:256 ; 4-byte Folded Spill
	ds_write_b128 v0, v[36:39]
	ds_write_b128 v0, v[112:115] offset:80
	ds_write_b128 v0, v[104:107] offset:160
	;; [unrolled: 1-line block ×4, first 2 shown]
	v_mad_u16 v0, v144, 25, v145
	v_and_b32_e32 v0, 0xffff, v0
	v_lshl_add_u32 v53, v0, 4, v213
	ds_write_b128 v53, v[20:23]
	ds_write_b128 v53, v[24:27] offset:80
	ds_write_b128 v53, v[32:35] offset:160
	;; [unrolled: 1-line block ×4, first 2 shown]
	v_mul_lo_u16 v32, v50, 41
	s_waitcnt lgkmcnt(0)
	s_waitcnt_vscnt null, 0x0
	s_barrier
	buffer_gl0_inv
	ds_read_b128 v[164:167], v40
	ds_read_b128 v[28:31], v40 offset:6000
	ds_read_b128 v[24:27], v40 offset:12000
	;; [unrolled: 1-line block ×14, first 2 shown]
	v_lshrrev_b16 v50, 10, v32
	v_mul_lo_u16 v32, v50, 25
	v_sub_nc_u16 v58, v58, v32
	v_lshlrev_b32_sdwa v32, v51, v58 dst_sel:DWORD dst_unused:UNUSED_PAD src0_sel:DWORD src1_sel:BYTE_0
	s_clause 0x3
	global_load_dwordx4 v[96:99], v32, s[10:11] offset:368
	global_load_dwordx4 v[104:107], v32, s[10:11] offset:352
	;; [unrolled: 1-line block ×4, first 2 shown]
	s_waitcnt vmcnt(0) lgkmcnt(13)
	v_mul_f64 v[32:33], v[30:31], v[122:123]
	v_fma_f64 v[184:185], v[28:29], v[120:121], -v[32:33]
	v_mul_f64 v[28:29], v[28:29], v[122:123]
	v_fma_f64 v[36:37], v[30:31], v[120:121], v[28:29]
	s_waitcnt lgkmcnt(12)
	v_mul_f64 v[28:29], v[26:27], v[114:115]
	v_fma_f64 v[188:189], v[24:25], v[112:113], -v[28:29]
	v_mul_f64 v[24:25], v[24:25], v[114:115]
	v_fma_f64 v[48:49], v[26:27], v[112:113], v[24:25]
	s_waitcnt lgkmcnt(11)
	;; [unrolled: 5-line block ×3, first 2 shown]
	v_mul_f64 v[20:21], v[18:19], v[98:99]
	v_fma_f64 v[192:193], v[16:17], v[96:97], -v[20:21]
	v_mul_f64 v[16:17], v[16:17], v[98:99]
	v_add_f64 v[54:55], v[192:193], -v[190:191]
	v_fma_f64 v[16:17], v[18:19], v[96:97], v[16:17]
	v_mul_lo_u16 v18, v59, 41
	v_lshrrev_b16 v59, 10, v18
	v_mul_lo_u16 v18, v59, 25
	v_sub_nc_u16 v194, v212, v18
	v_lshlrev_b32_sdwa v18, v51, v194 dst_sel:DWORD dst_unused:UNUSED_PAD src0_sel:DWORD src1_sel:BYTE_0
	s_clause 0x3
	global_load_dwordx4 v[116:119], v18, s[10:11] offset:368
	global_load_dwordx4 v[124:127], v18, s[10:11] offset:352
	;; [unrolled: 1-line block ×4, first 2 shown]
	s_waitcnt vmcnt(0) lgkmcnt(8)
	v_mul_f64 v[18:19], v[14:15], v[138:139]
	v_fma_f64 v[24:25], v[12:13], v[136:137], -v[18:19]
	v_mul_f64 v[12:13], v[12:13], v[138:139]
	v_fma_f64 v[14:15], v[14:15], v[136:137], v[12:13]
	s_waitcnt lgkmcnt(7)
	v_mul_f64 v[12:13], v[10:11], v[130:131]
	v_fma_f64 v[26:27], v[8:9], v[128:129], -v[12:13]
	v_mul_f64 v[8:9], v[8:9], v[130:131]
	v_add_f64 v[12:13], v[184:185], -v[188:189]
	v_fma_f64 v[20:21], v[10:11], v[128:129], v[8:9]
	s_waitcnt lgkmcnt(6)
	v_mul_f64 v[8:9], v[6:7], v[126:127]
	v_add_f64 v[12:13], v[12:13], v[54:55]
	v_add_f64 v[54:55], v[190:191], -v[192:193]
	v_fma_f64 v[10:11], v[4:5], v[124:125], -v[8:9]
	v_mul_f64 v[4:5], v[4:5], v[126:127]
	v_add_f64 v[8:9], v[48:49], -v[38:39]
	v_fma_f64 v[18:19], v[6:7], v[124:125], v[4:5]
	s_waitcnt lgkmcnt(5)
	v_mul_f64 v[4:5], v[2:3], v[118:119]
	v_fma_f64 v[6:7], v[0:1], v[116:117], -v[4:5]
	v_mul_f64 v[0:1], v[0:1], v[118:119]
	v_fma_f64 v[22:23], v[2:3], v[116:117], v[0:1]
	v_mov_b32_e32 v0, 0x47af
	v_add_f64 v[2:3], v[36:37], -v[16:17]
	v_mul_u32_u24_sdwa v0, v57, v0 dst_sel:DWORD dst_unused:UNUSED_PAD src0_sel:WORD_0 src1_sel:DWORD
	v_lshrrev_b32_e32 v0, 16, v0
	v_sub_nc_u16 v1, v57, v0
	v_lshrrev_b16 v1, 1, v1
	v_add_nc_u16 v0, v1, v0
	v_lshrrev_b16 v51, 4, v0
	v_mul_lo_u16 v0, v51, 25
	v_sub_nc_u16 v195, v57, v0
	v_lshlrev_b16 v0, 6, v195
	v_and_b32_e32 v0, 0xffff, v0
	v_add_co_u32 v0, s16, s10, v0
	v_add_co_ci_u32_e64 v1, null, s11, 0, s16
	s_clause 0x3
	global_load_dwordx4 v[140:143], v[0:1], off offset:368
	global_load_dwordx4 v[144:147], v[0:1], off offset:352
	;; [unrolled: 1-line block ×4, first 2 shown]
	s_waitcnt vmcnt(0) lgkmcnt(0)
	s_barrier
	buffer_gl0_inv
	v_mul_f64 v[0:1], v[182:183], v[154:155]
	v_fma_f64 v[42:43], v[180:181], v[152:153], -v[0:1]
	v_mul_f64 v[0:1], v[180:181], v[154:155]
	v_fma_f64 v[28:29], v[182:183], v[152:153], v[0:1]
	v_mul_f64 v[0:1], v[178:179], v[150:151]
	v_fma_f64 v[44:45], v[176:177], v[148:149], -v[0:1]
	v_mul_f64 v[0:1], v[176:177], v[150:151]
	v_fma_f64 v[32:33], v[178:179], v[148:149], v[0:1]
	;; [unrolled: 4-line block ×4, first 2 shown]
	v_add_f64 v[0:1], v[164:165], v[184:185]
	v_add_f64 v[0:1], v[0:1], v[188:189]
	;; [unrolled: 1-line block ×5, first 2 shown]
	v_fma_f64 v[0:1], v[0:1], -0.5, v[164:165]
	v_fma_f64 v[4:5], v[2:3], s[2:3], v[0:1]
	v_fma_f64 v[0:1], v[2:3], s[14:15], v[0:1]
	;; [unrolled: 1-line block ×6, first 2 shown]
	v_add_f64 v[0:1], v[184:185], v[192:193]
	v_add_f64 v[12:13], v[188:189], -v[184:185]
	v_fma_f64 v[0:1], v[0:1], -0.5, v[164:165]
	v_add_f64 v[12:13], v[12:13], v[54:55]
	v_add_f64 v[54:55], v[16:17], -v[38:39]
	v_fma_f64 v[4:5], v[8:9], s[14:15], v[0:1]
	v_fma_f64 v[0:1], v[8:9], s[2:3], v[0:1]
	v_add_f64 v[8:9], v[188:189], -v[190:191]
	v_fma_f64 v[4:5], v[2:3], s[8:9], v[4:5]
	v_fma_f64 v[0:1], v[2:3], s[6:7], v[0:1]
	;; [unrolled: 3-line block ×3, first 2 shown]
	v_add_f64 v[0:1], v[166:167], v[36:37]
	v_add_f64 v[12:13], v[36:37], -v[48:49]
	v_add_f64 v[0:1], v[0:1], v[48:49]
	v_add_f64 v[12:13], v[12:13], v[54:55]
	v_add_f64 v[54:55], v[44:45], -v[42:43]
	v_add_f64 v[0:1], v[0:1], v[38:39]
	v_add_f64 v[170:171], v[0:1], v[16:17]
	;; [unrolled: 1-line block ×3, first 2 shown]
	v_fma_f64 v[0:1], v[0:1], -0.5, v[166:167]
	v_fma_f64 v[4:5], v[2:3], s[14:15], v[0:1]
	v_fma_f64 v[0:1], v[2:3], s[2:3], v[0:1]
	;; [unrolled: 1-line block ×6, first 2 shown]
	v_add_f64 v[0:1], v[36:37], v[16:17]
	v_add_f64 v[12:13], v[48:49], -v[36:37]
	v_add_f64 v[16:17], v[38:39], -v[16:17]
	;; [unrolled: 1-line block ×5, first 2 shown]
	v_fma_f64 v[0:1], v[0:1], -0.5, v[166:167]
	v_add_f64 v[12:13], v[12:13], v[16:17]
	v_add_f64 v[16:17], v[14:15], -v[22:23]
	v_add_f64 v[38:39], v[38:39], v[48:49]
	v_add_f64 v[48:49], v[186:187], -v[46:47]
	v_fma_f64 v[4:5], v[8:9], s[2:3], v[0:1]
	v_fma_f64 v[0:1], v[8:9], s[14:15], v[0:1]
	v_add_f64 v[8:9], v[24:25], -v[26:27]
	v_fma_f64 v[4:5], v[2:3], s[6:7], v[4:5]
	v_fma_f64 v[0:1], v[2:3], s[8:9], v[0:1]
	v_add_f64 v[2:3], v[26:27], v[10:11]
	v_fma_f64 v[166:167], v[12:13], s[4:5], v[4:5]
	v_fma_f64 v[182:183], v[12:13], s[4:5], v[0:1]
	v_fma_f64 v[2:3], v[2:3], -0.5, v[160:161]
	v_add_f64 v[12:13], v[6:7], -v[10:11]
	v_add_f64 v[0:1], v[160:161], v[24:25]
	v_fma_f64 v[4:5], v[16:17], s[2:3], v[2:3]
	v_fma_f64 v[2:3], v[16:17], s[14:15], v[2:3]
	v_add_f64 v[12:13], v[8:9], v[12:13]
	v_add_f64 v[0:1], v[0:1], v[26:27]
	v_add_f64 v[26:27], v[26:27], -v[10:11]
	v_fma_f64 v[4:5], v[36:37], s[8:9], v[4:5]
	v_fma_f64 v[2:3], v[36:37], s[6:7], v[2:3]
	v_add_f64 v[0:1], v[0:1], v[10:11]
	v_add_f64 v[10:11], v[14:15], -v[20:21]
	v_fma_f64 v[8:9], v[12:13], s[4:5], v[4:5]
	v_fma_f64 v[4:5], v[12:13], s[4:5], v[2:3]
	v_add_f64 v[2:3], v[24:25], v[6:7]
	v_add_f64 v[24:25], v[24:25], -v[6:7]
	v_add_f64 v[0:1], v[0:1], v[6:7]
	v_fma_f64 v[2:3], v[2:3], -0.5, v[160:161]
	v_fma_f64 v[12:13], v[36:37], s[14:15], v[2:3]
	v_fma_f64 v[2:3], v[36:37], s[2:3], v[2:3]
	v_add_f64 v[36:37], v[20:21], v[18:19]
	v_fma_f64 v[12:13], v[16:17], s[8:9], v[12:13]
	v_fma_f64 v[2:3], v[16:17], s[6:7], v[2:3]
	v_fma_f64 v[36:37], v[36:37], -0.5, v[162:163]
	v_fma_f64 v[12:13], v[38:39], s[4:5], v[12:13]
	v_fma_f64 v[16:17], v[38:39], s[4:5], v[2:3]
	;; [unrolled: 1-line block ×3, first 2 shown]
	v_add_f64 v[38:39], v[22:23], -v[18:19]
	v_add_f64 v[2:3], v[162:163], v[14:15]
	v_fma_f64 v[6:7], v[26:27], s[6:7], v[6:7]
	v_add_f64 v[38:39], v[10:11], v[38:39]
	v_add_f64 v[2:3], v[2:3], v[20:21]
	v_fma_f64 v[10:11], v[38:39], s[4:5], v[6:7]
	v_fma_f64 v[6:7], v[24:25], s[2:3], v[36:37]
	v_add_f64 v[36:37], v[14:15], v[22:23]
	v_add_f64 v[2:3], v[2:3], v[18:19]
	v_add_f64 v[14:15], v[20:21], -v[14:15]
	v_add_f64 v[18:19], v[18:19], -v[22:23]
	v_fma_f64 v[6:7], v[26:27], s[8:9], v[6:7]
	v_fma_f64 v[36:37], v[36:37], -0.5, v[162:163]
	v_add_f64 v[2:3], v[2:3], v[22:23]
	v_add_f64 v[22:23], v[44:45], v[46:47]
	;; [unrolled: 1-line block ×3, first 2 shown]
	v_fma_f64 v[6:7], v[38:39], s[4:5], v[6:7]
	v_fma_f64 v[38:39], v[26:27], s[2:3], v[36:37]
	;; [unrolled: 1-line block ×3, first 2 shown]
	v_fma_f64 v[22:23], v[22:23], -0.5, v[156:157]
	v_add_f64 v[26:27], v[28:29], -v[34:35]
	v_add_f64 v[36:37], v[42:43], -v[44:45]
	v_fma_f64 v[38:39], v[24:25], s[6:7], v[38:39]
	v_fma_f64 v[20:21], v[24:25], s[8:9], v[20:21]
	;; [unrolled: 1-line block ×4, first 2 shown]
	v_add_f64 v[36:37], v[36:37], v[48:49]
	v_fma_f64 v[14:15], v[18:19], s[4:5], v[38:39]
	v_add_f64 v[38:39], v[32:33], -v[30:31]
	v_fma_f64 v[18:19], v[18:19], s[4:5], v[20:21]
	v_add_f64 v[20:21], v[156:157], v[42:43]
	v_fma_f64 v[24:25], v[38:39], s[8:9], v[24:25]
	v_fma_f64 v[22:23], v[38:39], s[6:7], v[22:23]
	v_add_f64 v[20:21], v[20:21], v[44:45]
	v_add_f64 v[44:45], v[44:45], -v[46:47]
	v_fma_f64 v[24:25], v[36:37], s[4:5], v[24:25]
	v_fma_f64 v[36:37], v[36:37], s[4:5], v[22:23]
	v_add_f64 v[22:23], v[42:43], v[186:187]
	v_add_f64 v[42:43], v[42:43], -v[186:187]
	v_add_f64 v[20:21], v[20:21], v[46:47]
	v_fma_f64 v[22:23], v[22:23], -0.5, v[156:157]
	v_add_f64 v[156:157], v[46:47], -v[186:187]
	v_add_f64 v[46:47], v[28:29], -v[32:33]
	v_add_f64 v[20:21], v[20:21], v[186:187]
	v_fma_f64 v[48:49], v[38:39], s[14:15], v[22:23]
	v_fma_f64 v[22:23], v[38:39], s[2:3], v[22:23]
	v_add_f64 v[54:55], v[54:55], v[156:157]
	v_fma_f64 v[48:49], v[26:27], s[8:9], v[48:49]
	v_fma_f64 v[22:23], v[26:27], s[6:7], v[22:23]
	v_add_f64 v[26:27], v[32:33], v[30:31]
	v_fma_f64 v[156:157], v[54:55], s[4:5], v[48:49]
	v_add_f64 v[48:49], v[34:35], -v[30:31]
	v_fma_f64 v[38:39], v[26:27], -0.5, v[158:159]
	v_fma_f64 v[160:161], v[54:55], s[4:5], v[22:23]
	v_add_f64 v[22:23], v[158:159], v[28:29]
	v_add_f64 v[46:47], v[46:47], v[48:49]
	v_fma_f64 v[26:27], v[42:43], s[14:15], v[38:39]
	v_fma_f64 v[38:39], v[42:43], s[2:3], v[38:39]
	v_add_f64 v[22:23], v[22:23], v[32:33]
	v_fma_f64 v[26:27], v[44:45], s[6:7], v[26:27]
	v_fma_f64 v[38:39], v[44:45], s[8:9], v[38:39]
	v_add_f64 v[22:23], v[22:23], v[30:31]
	v_add_f64 v[30:31], v[30:31], -v[34:35]
	v_fma_f64 v[26:27], v[46:47], s[4:5], v[26:27]
	v_fma_f64 v[38:39], v[46:47], s[4:5], v[38:39]
	v_add_f64 v[46:47], v[28:29], v[34:35]
	v_add_f64 v[28:29], v[32:33], -v[28:29]
	v_add_f64 v[22:23], v[22:23], v[34:35]
	v_fma_f64 v[46:47], v[46:47], -0.5, v[158:159]
	v_add_f64 v[28:29], v[28:29], v[30:31]
	v_fma_f64 v[48:49], v[44:45], s[2:3], v[46:47]
	v_fma_f64 v[30:31], v[44:45], s[14:15], v[46:47]
	;; [unrolled: 1-line block ×6, first 2 shown]
	v_mov_b32_e32 v28, 0x7d
	v_mul_u32_u24_sdwa v29, v50, v28 dst_sel:DWORD dst_unused:UNUSED_PAD src0_sel:WORD_0 src1_sel:DWORD
	v_mul_u32_u24_sdwa v28, v59, v28 dst_sel:DWORD dst_unused:UNUSED_PAD src0_sel:WORD_0 src1_sel:DWORD
	v_add_nc_u32_sdwa v29, v29, v58 dst_sel:DWORD dst_unused:UNUSED_PAD src0_sel:DWORD src1_sel:BYTE_0
	v_add_nc_u32_sdwa v28, v28, v194 dst_sel:DWORD dst_unused:UNUSED_PAD src0_sel:DWORD src1_sel:BYTE_0
	v_lshl_add_u32 v58, v29, 4, v213
	v_lshl_add_u32 v55, v28, 4, v213
	ds_write_b128 v58, v[168:171]
	ds_write_b128 v58, v[176:179] offset:400
	ds_write_b128 v58, v[164:167] offset:800
	;; [unrolled: 1-line block ×4, first 2 shown]
	ds_write_b128 v55, v[0:3]
	ds_write_b128 v55, v[8:11] offset:400
	ds_write_b128 v55, v[12:15] offset:800
	;; [unrolled: 1-line block ×4, first 2 shown]
	v_mad_u16 v0, 0x7d, v51, v195
	v_lshlrev_b32_e32 v4, 6, v208
	v_and_b32_e32 v0, 0xffff, v0
	v_lshl_add_u32 v54, v0, 4, v213
	ds_write_b128 v54, v[20:23]
	ds_write_b128 v54, v[24:27] offset:400
	ds_write_b128 v54, v[156:159] offset:800
	;; [unrolled: 1-line block ×4, first 2 shown]
	s_waitcnt lgkmcnt(0)
	s_barrier
	buffer_gl0_inv
	ds_read_b128 v[6:9], v40
	ds_read_b128 v[10:13], v40 offset:6000
	ds_read_b128 v[14:17], v40 offset:12000
	;; [unrolled: 1-line block ×14, first 2 shown]
	s_clause 0x3
	global_load_dwordx4 v[156:159], v4, s[10:11] offset:1968
	global_load_dwordx4 v[160:163], v4, s[10:11] offset:1952
	;; [unrolled: 1-line block ×4, first 2 shown]
	s_waitcnt vmcnt(0) lgkmcnt(13)
	v_mul_f64 v[4:5], v[12:13], v[170:171]
	v_fma_f64 v[50:51], v[10:11], v[168:169], -v[4:5]
	v_mul_f64 v[4:5], v[10:11], v[170:171]
	v_fma_f64 v[10:11], v[12:13], v[168:169], v[4:5]
	s_waitcnt lgkmcnt(12)
	v_mul_f64 v[4:5], v[16:17], v[166:167]
	v_fma_f64 v[12:13], v[14:15], v[164:165], -v[4:5]
	v_mul_f64 v[4:5], v[14:15], v[166:167]
	v_fma_f64 v[16:17], v[16:17], v[164:165], v[4:5]
	s_waitcnt lgkmcnt(11)
	v_mul_f64 v[4:5], v[20:21], v[162:163]
	v_fma_f64 v[214:215], v[18:19], v[160:161], -v[4:5]
	v_mul_f64 v[4:5], v[18:19], v[162:163]
	v_fma_f64 v[20:21], v[20:21], v[160:161], v[4:5]
	s_waitcnt lgkmcnt(10)
	v_mul_f64 v[4:5], v[24:25], v[158:159]
	v_fma_f64 v[216:217], v[22:23], v[156:157], -v[4:5]
	v_mul_f64 v[4:5], v[22:23], v[158:159]
	v_fma_f64 v[24:25], v[24:25], v[156:157], v[4:5]
	s_waitcnt lgkmcnt(8)
	v_mul_f64 v[4:5], v[28:29], v[170:171]
	v_fma_f64 v[14:15], v[26:27], v[168:169], -v[4:5]
	v_mul_f64 v[4:5], v[26:27], v[170:171]
	v_fma_f64 v[26:27], v[28:29], v[168:169], v[4:5]
	s_waitcnt lgkmcnt(7)
	v_mul_f64 v[4:5], v[32:33], v[166:167]
	v_fma_f64 v[18:19], v[30:31], v[164:165], -v[4:5]
	v_mul_f64 v[4:5], v[30:31], v[166:167]
	v_fma_f64 v[38:39], v[32:33], v[164:165], v[4:5]
	s_waitcnt lgkmcnt(6)
	v_mul_f64 v[4:5], v[36:37], v[162:163]
	v_fma_f64 v[208:209], v[34:35], v[160:161], -v[4:5]
	v_mul_f64 v[4:5], v[34:35], v[162:163]
	v_fma_f64 v[22:23], v[36:37], v[160:161], v[4:5]
	s_waitcnt lgkmcnt(5)
	v_mul_f64 v[4:5], v[44:45], v[158:159]
	v_fma_f64 v[210:211], v[42:43], v[156:157], -v[4:5]
	v_mul_f64 v[4:5], v[42:43], v[158:159]
	v_fma_f64 v[36:37], v[44:45], v[156:157], v[4:5]
	v_mov_b32_e32 v4, 0x625
	v_mul_u32_u24_sdwa v4, v57, v4 dst_sel:DWORD dst_unused:UNUSED_PAD src0_sel:WORD_0 src1_sel:DWORD
	v_lshrrev_b32_e32 v4, 16, v4
	v_sub_nc_u16 v5, v57, v4
	v_lshrrev_b16 v5, 1, v5
	v_add_nc_u16 v4, v5, v4
	v_lshrrev_b16 v4, 6, v4
	v_mul_lo_u16 v4, 0x7d, v4
	v_sub_nc_u16 v59, v57, v4
	v_lshlrev_b16 v4, 6, v59
	v_and_b32_e32 v4, 0xffff, v4
	v_add_co_u32 v4, s16, s10, v4
	v_add_co_ci_u32_e64 v5, null, s11, 0, s16
	s_clause 0x3
	global_load_dwordx4 v[172:175], v[4:5], off offset:1968
	global_load_dwordx4 v[176:179], v[4:5], off offset:1952
	;; [unrolled: 1-line block ×4, first 2 shown]
	s_waitcnt vmcnt(0) lgkmcnt(0)
	s_barrier
	buffer_gl0_inv
	v_mul_f64 v[4:5], v[198:199], v[186:187]
	v_fma_f64 v[48:49], v[196:197], v[184:185], -v[4:5]
	v_mul_f64 v[4:5], v[196:197], v[186:187]
	v_fma_f64 v[28:29], v[198:199], v[184:185], v[4:5]
	v_mul_f64 v[4:5], v[202:203], v[182:183]
	v_add_f64 v[198:199], v[16:17], -v[20:21]
	v_fma_f64 v[42:43], v[200:201], v[180:181], -v[4:5]
	v_mul_f64 v[4:5], v[200:201], v[182:183]
	v_add_f64 v[200:201], v[50:51], -v[12:13]
	v_fma_f64 v[32:33], v[202:203], v[180:181], v[4:5]
	v_mul_f64 v[4:5], v[206:207], v[178:179]
	v_add_f64 v[202:203], v[216:217], -v[214:215]
	v_fma_f64 v[44:45], v[204:205], v[176:177], -v[4:5]
	v_mul_f64 v[4:5], v[204:205], v[178:179]
	v_add_f64 v[200:201], v[200:201], v[202:203]
	v_add_f64 v[202:203], v[12:13], -v[50:51]
	v_add_f64 v[204:205], v[214:215], -v[216:217]
	v_fma_f64 v[30:31], v[206:207], v[176:177], v[4:5]
	v_mul_f64 v[4:5], v[2:3], v[174:175]
	v_add_f64 v[206:207], v[24:25], -v[20:21]
	v_add_f64 v[202:203], v[202:203], v[204:205]
	v_fma_f64 v[46:47], v[0:1], v[172:173], -v[4:5]
	v_mul_f64 v[0:1], v[0:1], v[174:175]
	v_fma_f64 v[34:35], v[2:3], v[172:173], v[0:1]
	v_add_f64 v[0:1], v[6:7], v[50:51]
	v_add_f64 v[2:3], v[10:11], -v[24:25]
	v_add_f64 v[0:1], v[0:1], v[12:13]
	v_add_f64 v[0:1], v[0:1], v[214:215]
	;; [unrolled: 1-line block ×4, first 2 shown]
	v_add_f64 v[12:13], v[12:13], -v[214:215]
	v_add_f64 v[214:215], v[208:209], -v[210:211]
	v_fma_f64 v[0:1], v[0:1], -0.5, v[6:7]
	v_fma_f64 v[4:5], v[2:3], s[2:3], v[0:1]
	v_fma_f64 v[0:1], v[2:3], s[14:15], v[0:1]
	;; [unrolled: 1-line block ×6, first 2 shown]
	v_add_f64 v[200:201], v[50:51], v[216:217]
	v_add_f64 v[50:51], v[50:51], -v[216:217]
	v_fma_f64 v[6:7], v[200:201], -0.5, v[6:7]
	v_fma_f64 v[200:201], v[198:199], s[14:15], v[6:7]
	v_fma_f64 v[6:7], v[198:199], s[2:3], v[6:7]
	;; [unrolled: 1-line block ×6, first 2 shown]
	v_add_f64 v[2:3], v[8:9], v[10:11]
	v_add_f64 v[202:203], v[10:11], -v[16:17]
	v_add_f64 v[2:3], v[2:3], v[16:17]
	v_add_f64 v[202:203], v[202:203], v[206:207]
	v_add_f64 v[2:3], v[2:3], v[20:21]
	v_add_f64 v[198:199], v[2:3], v[24:25]
	v_add_f64 v[2:3], v[16:17], v[20:21]
	v_fma_f64 v[2:3], v[2:3], -0.5, v[8:9]
	v_fma_f64 v[6:7], v[50:51], s[14:15], v[2:3]
	v_fma_f64 v[2:3], v[50:51], s[2:3], v[2:3]
	;; [unrolled: 1-line block ×6, first 2 shown]
	v_add_f64 v[202:203], v[10:11], v[24:25]
	v_add_f64 v[10:11], v[16:17], -v[10:11]
	v_add_f64 v[16:17], v[20:21], -v[24:25]
	v_add_f64 v[24:25], v[26:27], -v[36:37]
	v_add_f64 v[20:21], v[210:211], -v[208:209]
	v_fma_f64 v[8:9], v[202:203], -0.5, v[8:9]
	v_add_f64 v[10:11], v[10:11], v[16:17]
	v_add_f64 v[16:17], v[14:15], -v[18:19]
	v_fma_f64 v[202:203], v[12:13], s[2:3], v[8:9]
	v_fma_f64 v[8:9], v[12:13], s[14:15], v[8:9]
	v_add_f64 v[20:21], v[16:17], v[20:21]
	v_fma_f64 v[202:203], v[50:51], s[6:7], v[202:203]
	v_fma_f64 v[8:9], v[50:51], s[8:9], v[8:9]
	v_add_f64 v[50:51], v[38:39], -v[22:23]
	v_fma_f64 v[202:203], v[10:11], s[4:5], v[202:203]
	v_fma_f64 v[206:207], v[10:11], s[4:5], v[8:9]
	v_add_f64 v[10:11], v[18:19], v[208:209]
	v_add_f64 v[8:9], v[192:193], v[14:15]
	v_fma_f64 v[10:11], v[10:11], -0.5, v[192:193]
	v_add_f64 v[8:9], v[8:9], v[18:19]
	v_fma_f64 v[12:13], v[24:25], s[2:3], v[10:11]
	v_fma_f64 v[10:11], v[24:25], s[14:15], v[10:11]
	v_add_f64 v[8:9], v[8:9], v[208:209]
	v_add_f64 v[208:209], v[18:19], -v[208:209]
	v_fma_f64 v[12:13], v[50:51], s[8:9], v[12:13]
	v_fma_f64 v[10:11], v[50:51], s[6:7], v[10:11]
	v_add_f64 v[8:9], v[8:9], v[210:211]
	v_fma_f64 v[16:17], v[20:21], s[4:5], v[12:13]
	v_fma_f64 v[12:13], v[20:21], s[4:5], v[10:11]
	v_add_f64 v[10:11], v[14:15], v[210:211]
	v_fma_f64 v[10:11], v[10:11], -0.5, v[192:193]
	v_add_f64 v[192:193], v[18:19], -v[14:15]
	v_add_f64 v[18:19], v[26:27], -v[38:39]
	v_fma_f64 v[20:21], v[50:51], s[14:15], v[10:11]
	v_fma_f64 v[10:11], v[50:51], s[2:3], v[10:11]
	v_add_f64 v[192:193], v[192:193], v[214:215]
	v_add_f64 v[50:51], v[38:39], v[22:23]
	v_add_f64 v[214:215], v[44:45], -v[46:47]
	v_fma_f64 v[20:21], v[24:25], s[8:9], v[20:21]
	v_fma_f64 v[10:11], v[24:25], s[6:7], v[10:11]
	v_fma_f64 v[50:51], v[50:51], -0.5, v[194:195]
	v_fma_f64 v[20:21], v[192:193], s[4:5], v[20:21]
	v_fma_f64 v[24:25], v[192:193], s[4:5], v[10:11]
	v_add_f64 v[192:193], v[14:15], -v[210:211]
	v_add_f64 v[210:211], v[36:37], -v[22:23]
	v_add_f64 v[10:11], v[194:195], v[26:27]
	v_fma_f64 v[14:15], v[192:193], s[14:15], v[50:51]
	v_add_f64 v[210:211], v[18:19], v[210:211]
	v_add_f64 v[10:11], v[10:11], v[38:39]
	v_fma_f64 v[14:15], v[208:209], s[6:7], v[14:15]
	v_add_f64 v[10:11], v[10:11], v[22:23]
	v_add_f64 v[22:23], v[22:23], -v[36:37]
	v_fma_f64 v[18:19], v[210:211], s[4:5], v[14:15]
	v_fma_f64 v[14:15], v[192:193], s[2:3], v[50:51]
	v_add_f64 v[50:51], v[26:27], v[36:37]
	v_add_f64 v[26:27], v[38:39], -v[26:27]
	v_add_f64 v[38:39], v[42:43], v[44:45]
	v_add_f64 v[10:11], v[10:11], v[36:37]
	v_fma_f64 v[14:15], v[208:209], s[8:9], v[14:15]
	v_fma_f64 v[50:51], v[50:51], -0.5, v[194:195]
	v_add_f64 v[26:27], v[26:27], v[22:23]
	v_fma_f64 v[38:39], v[38:39], -0.5, v[188:189]
	v_fma_f64 v[14:15], v[210:211], s[4:5], v[14:15]
	v_fma_f64 v[194:195], v[208:209], s[2:3], v[50:51]
	;; [unrolled: 1-line block ×3, first 2 shown]
	v_add_f64 v[50:51], v[28:29], -v[34:35]
	v_add_f64 v[208:209], v[48:49], -v[42:43]
	;; [unrolled: 1-line block ×3, first 2 shown]
	v_fma_f64 v[194:195], v[192:193], s[6:7], v[194:195]
	v_fma_f64 v[36:37], v[192:193], s[8:9], v[36:37]
	;; [unrolled: 1-line block ×4, first 2 shown]
	v_add_f64 v[208:209], v[208:209], v[210:211]
	v_add_f64 v[210:211], v[42:43], -v[48:49]
	v_fma_f64 v[22:23], v[26:27], s[4:5], v[194:195]
	v_add_f64 v[194:195], v[32:33], -v[30:31]
	v_fma_f64 v[26:27], v[26:27], s[4:5], v[36:37]
	v_add_f64 v[36:37], v[188:189], v[48:49]
	ds_write_b128 v40, v[196:199]
	ds_write_b128 v40, v[4:7] offset:2000
	ds_write_b128 v40, v[200:203] offset:4000
	;; [unrolled: 1-line block ×9, first 2 shown]
	v_add_f64 v[210:211], v[210:211], v[214:215]
	v_and_b32_e32 v0, 0xffff, v59
	v_fma_f64 v[192:193], v[194:195], s[8:9], v[192:193]
	v_fma_f64 v[38:39], v[194:195], s[6:7], v[38:39]
	v_add_f64 v[36:37], v[36:37], v[42:43]
	v_add_f64 v[42:43], v[42:43], -v[44:45]
	v_lshl_add_u32 v59, v0, 4, v213
	v_fma_f64 v[192:193], v[208:209], s[4:5], v[192:193]
	v_fma_f64 v[208:209], v[208:209], s[4:5], v[38:39]
	v_add_f64 v[38:39], v[48:49], v[46:47]
	v_add_f64 v[36:37], v[36:37], v[44:45]
	v_fma_f64 v[38:39], v[38:39], -0.5, v[188:189]
	v_add_f64 v[36:37], v[36:37], v[46:47]
	v_add_f64 v[46:47], v[48:49], -v[46:47]
	v_fma_f64 v[188:189], v[194:195], s[14:15], v[38:39]
	v_fma_f64 v[38:39], v[194:195], s[2:3], v[38:39]
	v_add_f64 v[194:195], v[34:35], -v[30:31]
	v_fma_f64 v[188:189], v[50:51], s[8:9], v[188:189]
	v_fma_f64 v[38:39], v[50:51], s[6:7], v[38:39]
	v_add_f64 v[50:51], v[32:33], v[30:31]
	v_fma_f64 v[188:189], v[210:211], s[4:5], v[188:189]
	v_fma_f64 v[214:215], v[210:211], s[4:5], v[38:39]
	v_fma_f64 v[50:51], v[50:51], -0.5, v[190:191]
	v_add_f64 v[38:39], v[190:191], v[28:29]
	v_fma_f64 v[48:49], v[46:47], s[14:15], v[50:51]
	v_add_f64 v[38:39], v[38:39], v[32:33]
	v_fma_f64 v[44:45], v[42:43], s[6:7], v[48:49]
	v_add_f64 v[48:49], v[28:29], -v[32:33]
	v_add_f64 v[38:39], v[38:39], v[30:31]
	v_add_f64 v[30:31], v[30:31], -v[34:35]
	v_add_f64 v[48:49], v[48:49], v[194:195]
	v_add_f64 v[38:39], v[38:39], v[34:35]
	v_fma_f64 v[194:195], v[48:49], s[4:5], v[44:45]
	v_fma_f64 v[44:45], v[46:47], s[2:3], v[50:51]
	v_add_nc_u32_e32 v50, 0x2ee0, v220
	v_fma_f64 v[44:45], v[42:43], s[8:9], v[44:45]
	v_fma_f64 v[210:211], v[48:49], s[4:5], v[44:45]
	v_add_f64 v[44:45], v[28:29], v[34:35]
	v_add_f64 v[28:29], v[32:33], -v[28:29]
	v_fma_f64 v[44:45], v[44:45], -0.5, v[190:191]
	v_add_f64 v[28:29], v[28:29], v[30:31]
	v_fma_f64 v[48:49], v[42:43], s[2:3], v[44:45]
	v_fma_f64 v[30:31], v[42:43], s[14:15], v[44:45]
	;; [unrolled: 1-line block ×6, first 2 shown]
	v_add_co_u32 v48, s16, s10, v220
	v_add_co_ci_u32_e64 v49, null, s11, 0, s16
	ds_write_b128 v59, v[36:39] offset:20000
	ds_write_b128 v59, v[192:195] offset:22000
	;; [unrolled: 1-line block ×5, first 2 shown]
	v_add_co_u32 v46, vcc_lo, 0x26c0, v48
	v_add_co_ci_u32_e32 v47, vcc_lo, 0, v49, vcc_lo
	v_add_co_u32 v48, vcc_lo, 0x2000, v48
	v_add_co_ci_u32_e32 v49, vcc_lo, 0, v49, vcc_lo
	s_waitcnt lgkmcnt(0)
	s_barrier
	buffer_gl0_inv
	ds_read_b128 v[12:15], v40
	ds_read_b128 v[24:27], v40 offset:10000
	ds_read_b128 v[28:31], v40 offset:20000
	;; [unrolled: 1-line block ×14, first 2 shown]
	s_clause 0x1
	global_load_dwordx4 v[192:195], v[48:49], off offset:1728
	global_load_dwordx4 v[188:191], v[46:47], off offset:16
	s_waitcnt vmcnt(1) lgkmcnt(13)
	v_mul_f64 v[46:47], v[26:27], v[194:195]
	v_fma_f64 v[46:47], v[24:25], v[192:193], -v[46:47]
	v_mul_f64 v[24:25], v[24:25], v[194:195]
	v_fma_f64 v[24:25], v[26:27], v[192:193], v[24:25]
	s_waitcnt vmcnt(0) lgkmcnt(12)
	v_mul_f64 v[26:27], v[30:31], v[190:191]
	v_fma_f64 v[26:27], v[28:29], v[188:189], -v[26:27]
	v_mul_f64 v[28:29], v[28:29], v[190:191]
	v_fma_f64 v[28:29], v[30:31], v[188:189], v[28:29]
	v_lshlrev_b32_e32 v30, 5, v212
	v_add_co_u32 v48, s16, s10, v30
	v_add_co_ci_u32_e64 v49, null, s11, 0, s16
	v_add_co_u32 v30, vcc_lo, 0x26c0, v48
	v_add_co_ci_u32_e32 v31, vcc_lo, 0, v49, vcc_lo
	v_add_co_u32 v48, vcc_lo, 0x2000, v48
	v_add_co_ci_u32_e32 v49, vcc_lo, 0, v49, vcc_lo
	s_clause 0x1
	global_load_dwordx4 v[200:203], v[48:49], off offset:1728
	global_load_dwordx4 v[196:199], v[30:31], off offset:16
	s_waitcnt vmcnt(1) lgkmcnt(10)
	v_mul_f64 v[30:31], v[34:35], v[202:203]
	v_fma_f64 v[30:31], v[32:33], v[200:201], -v[30:31]
	v_mul_f64 v[32:33], v[32:33], v[202:203]
	v_fma_f64 v[32:33], v[34:35], v[200:201], v[32:33]
	s_waitcnt vmcnt(0) lgkmcnt(9)
	v_mul_f64 v[34:35], v[38:39], v[198:199]
	v_fma_f64 v[34:35], v[36:37], v[196:197], -v[34:35]
	v_mul_f64 v[36:37], v[36:37], v[198:199]
	v_fma_f64 v[36:37], v[38:39], v[196:197], v[36:37]
	v_lshlrev_b32_e32 v38, 5, v57
	v_add_co_u32 v48, s16, s10, v38
	v_add_co_ci_u32_e64 v49, null, s11, 0, s16
	v_add_co_u32 v52, s16, s10, v50
	v_add_co_u32 v38, vcc_lo, 0x26c0, v48
	v_add_co_ci_u32_e32 v39, vcc_lo, 0, v49, vcc_lo
	v_add_co_u32 v48, vcc_lo, 0x2000, v48
	v_add_co_ci_u32_e32 v49, vcc_lo, 0, v49, vcc_lo
	s_clause 0x1
	global_load_dwordx4 v[208:211], v[48:49], off offset:1728
	global_load_dwordx4 v[204:207], v[38:39], off offset:16
	v_add_co_ci_u32_e64 v57, null, s11, 0, s16
	v_add_co_u32 v50, vcc_lo, 0x26c0, v52
	v_add_co_ci_u32_e32 v51, vcc_lo, 0, v57, vcc_lo
	v_add_co_u32 v212, vcc_lo, 0x2000, v52
	v_add_nc_u32_e32 v52, 0x3e80, v220
	v_add_co_u32 v52, s10, s10, v52
	s_waitcnt vmcnt(1) lgkmcnt(7)
	v_mul_f64 v[38:39], v[44:45], v[210:211]
	s_waitcnt vmcnt(0) lgkmcnt(6)
	v_mul_f64 v[48:49], v[213:214], v[206:207]
	v_fma_f64 v[38:39], v[42:43], v[208:209], -v[38:39]
	v_mul_f64 v[42:43], v[42:43], v[210:211]
	v_fma_f64 v[48:49], v[215:216], v[204:205], v[48:49]
	v_fma_f64 v[42:43], v[44:45], v[208:209], v[42:43]
	v_mul_f64 v[44:45], v[215:216], v[206:207]
	v_fma_f64 v[44:45], v[213:214], v[204:205], -v[44:45]
	v_add_co_ci_u32_e32 v213, vcc_lo, 0, v57, vcc_lo
	s_clause 0x1
	global_load_dwordx4 v[216:219], v[212:213], off offset:1728
	global_load_dwordx4 v[212:215], v[50:51], off offset:16
	v_add_co_ci_u32_e64 v57, null, s11, 0, s10
	v_add_co_u32 v220, vcc_lo, 0x26c0, v52
	s_mov_b32 s10, 0xe8584caa
	s_mov_b32 s11, 0x3febb67a
	;; [unrolled: 1-line block ×3, first 2 shown]
	s_waitcnt vmcnt(1) lgkmcnt(4)
	v_mul_f64 v[50:51], v[223:224], v[218:219]
	v_fma_f64 v[50:51], v[221:222], v[216:217], -v[50:51]
	v_mul_f64 v[221:222], v[221:222], v[218:219]
	v_fma_f64 v[237:238], v[223:224], v[216:217], v[221:222]
	s_waitcnt vmcnt(0) lgkmcnt(3)
	v_mul_f64 v[221:222], v[235:236], v[214:215]
	v_fma_f64 v[239:240], v[233:234], v[212:213], -v[221:222]
	v_mul_f64 v[221:222], v[233:234], v[214:215]
	v_fma_f64 v[235:236], v[235:236], v[212:213], v[221:222]
	v_add_co_ci_u32_e32 v221, vcc_lo, 0, v57, vcc_lo
	v_add_co_u32 v222, vcc_lo, 0x2000, v52
	v_add_co_ci_u32_e32 v223, vcc_lo, 0, v57, vcc_lo
	s_clause 0x1
	global_load_dwordx4 v[224:227], v[222:223], off offset:1728
	global_load_dwordx4 v[220:223], v[220:221], off offset:16
	s_waitcnt vmcnt(1) lgkmcnt(1)
	v_mul_f64 v[233:234], v[22:23], v[226:227]
	v_fma_f64 v[243:244], v[20:21], v[224:225], -v[233:234]
	v_mul_f64 v[20:21], v[20:21], v[226:227]
	v_fma_f64 v[245:246], v[22:23], v[224:225], v[20:21]
	s_waitcnt vmcnt(0) lgkmcnt(0)
	v_mul_f64 v[20:21], v[18:19], v[222:223]
	v_add_f64 v[22:23], v[24:25], v[28:29]
	v_fma_f64 v[247:248], v[16:17], v[220:221], -v[20:21]
	v_mul_f64 v[16:17], v[16:17], v[222:223]
	v_add_f64 v[20:21], v[24:25], -v[28:29]
	v_fma_f64 v[22:23], v[22:23], -0.5, v[14:15]
	v_fma_f64 v[249:250], v[18:19], v[220:221], v[16:17]
	v_add_f64 v[18:19], v[46:47], v[26:27]
	v_add_f64 v[16:17], v[12:13], v[46:47]
	v_fma_f64 v[18:19], v[18:19], -0.5, v[12:13]
	v_add_f64 v[16:17], v[16:17], v[26:27]
	v_fma_f64 v[12:13], v[20:21], s[10:11], v[18:19]
	v_fma_f64 v[20:21], v[20:21], s[16:17], v[18:19]
	v_add_f64 v[18:19], v[14:15], v[24:25]
	v_add_f64 v[24:25], v[46:47], -v[26:27]
	v_add_f64 v[26:27], v[30:31], v[34:35]
	v_add_f64 v[46:47], v[237:238], -v[235:236]
	;; [unrolled: 2-line block ×3, first 2 shown]
	v_fma_f64 v[26:27], v[26:27], -0.5, v[8:9]
	v_fma_f64 v[14:15], v[24:25], s[16:17], v[22:23]
	v_fma_f64 v[22:23], v[24:25], s[10:11], v[22:23]
	v_add_f64 v[24:25], v[8:9], v[30:31]
	v_add_f64 v[30:31], v[30:31], -v[34:35]
	v_fma_f64 v[8:9], v[28:29], s[10:11], v[26:27]
	v_fma_f64 v[28:29], v[28:29], s[16:17], v[26:27]
	v_add_f64 v[26:27], v[10:11], v[32:33]
	v_add_f64 v[32:33], v[32:33], v[36:37]
	;; [unrolled: 1-line block ×5, first 2 shown]
	v_fma_f64 v[32:33], v[32:33], -0.5, v[10:11]
	v_add_f64 v[36:37], v[42:43], -v[48:49]
	v_fma_f64 v[34:35], v[34:35], -0.5, v[4:5]
	v_fma_f64 v[10:11], v[30:31], s[16:17], v[32:33]
	v_fma_f64 v[30:31], v[30:31], s[10:11], v[32:33]
	v_add_f64 v[32:33], v[4:5], v[38:39]
	v_fma_f64 v[4:5], v[36:37], s[10:11], v[34:35]
	v_fma_f64 v[36:37], v[36:37], s[16:17], v[34:35]
	v_add_f64 v[34:35], v[6:7], v[42:43]
	v_add_f64 v[42:43], v[42:43], v[48:49]
	v_add_f64 v[38:39], v[38:39], -v[44:45]
	v_add_f64 v[32:33], v[32:33], v[44:45]
	v_add_f64 v[44:45], v[50:51], v[239:240]
	;; [unrolled: 1-line block ×3, first 2 shown]
	v_fma_f64 v[42:43], v[42:43], -0.5, v[6:7]
	v_add_f64 v[48:49], v[50:51], -v[239:240]
	v_fma_f64 v[44:45], v[44:45], -0.5, v[0:1]
	v_fma_f64 v[6:7], v[38:39], s[16:17], v[42:43]
	v_fma_f64 v[38:39], v[38:39], s[10:11], v[42:43]
	v_add_f64 v[42:43], v[0:1], v[50:51]
	v_fma_f64 v[0:1], v[46:47], s[10:11], v[44:45]
	v_fma_f64 v[233:234], v[46:47], s[16:17], v[44:45]
	v_add_f64 v[46:47], v[237:238], v[235:236]
	v_add_f64 v[44:45], v[2:3], v[237:238]
	;; [unrolled: 1-line block ×3, first 2 shown]
	v_fma_f64 v[46:47], v[46:47], -0.5, v[2:3]
	v_add_f64 v[44:45], v[44:45], v[235:236]
	v_fma_f64 v[2:3], v[48:49], s[16:17], v[46:47]
	v_fma_f64 v[235:236], v[48:49], s[10:11], v[46:47]
	v_add_f64 v[46:47], v[228:229], v[243:244]
	v_add_f64 v[48:49], v[245:246], -v[249:250]
	v_add_f64 v[237:238], v[46:47], v[247:248]
	v_add_f64 v[46:47], v[243:244], v[247:248]
	v_fma_f64 v[46:47], v[46:47], -0.5, v[228:229]
	v_fma_f64 v[228:229], v[48:49], s[10:11], v[46:47]
	v_fma_f64 v[241:242], v[48:49], s[16:17], v[46:47]
	v_add_f64 v[46:47], v[230:231], v[245:246]
	v_add_f64 v[48:49], v[243:244], -v[247:248]
	v_add_f64 v[239:240], v[46:47], v[249:250]
	v_add_f64 v[46:47], v[245:246], v[249:250]
	v_fma_f64 v[46:47], v[46:47], -0.5, v[230:231]
	v_fma_f64 v[230:231], v[48:49], s[16:17], v[46:47]
	v_fma_f64 v[243:244], v[48:49], s[10:11], v[46:47]
	ds_write_b128 v40, v[16:19]
	ds_write_b128 v40, v[12:15] offset:10000
	ds_write_b128 v40, v[20:23] offset:20000
	ds_write_b128 v40, v[24:27] offset:2000
	ds_write_b128 v40, v[8:11] offset:12000
	ds_write_b128 v40, v[28:31] offset:22000
	ds_write_b128 v40, v[32:35] offset:4000
	ds_write_b128 v40, v[4:7] offset:14000
	ds_write_b128 v40, v[36:39] offset:24000
	ds_write_b128 v40, v[42:45] offset:6000
	ds_write_b128 v40, v[0:3] offset:16000
	ds_write_b128 v40, v[233:236] offset:26000
	ds_write_b128 v40, v[237:240] offset:8000
	ds_write_b128 v40, v[228:231] offset:18000
	ds_write_b128 v40, v[241:244] offset:28000
	v_add_co_u32 v12, vcc_lo, 0x7530, v41
	v_add_co_ci_u32_e32 v13, vcc_lo, 0, v232, vcc_lo
	v_add_co_u32 v4, vcc_lo, 0x7000, v41
	v_add_co_ci_u32_e32 v5, vcc_lo, 0, v232, vcc_lo
	s_waitcnt lgkmcnt(0)
	s_barrier
	buffer_gl0_inv
	global_load_dwordx4 v[4:7], v[4:5], off offset:1328
	ds_read_b128 v[0:3], v40
	s_waitcnt vmcnt(0) lgkmcnt(0)
	v_mul_f64 v[8:9], v[2:3], v[6:7]
	v_fma_f64 v[8:9], v[0:1], v[4:5], -v[8:9]
	v_mul_f64 v[0:1], v[0:1], v[6:7]
	v_fma_f64 v[10:11], v[2:3], v[4:5], v[0:1]
	v_add_co_u32 v4, vcc_lo, 0x8800, v41
	v_add_co_ci_u32_e32 v5, vcc_lo, 0, v232, vcc_lo
	ds_read_b128 v[0:3], v40 offset:6000
	global_load_dwordx4 v[4:7], v[4:5], off offset:1184
	ds_write_b128 v40, v[8:11]
	s_waitcnt vmcnt(0) lgkmcnt(1)
	v_mul_f64 v[8:9], v[2:3], v[6:7]
	v_fma_f64 v[8:9], v[0:1], v[4:5], -v[8:9]
	v_mul_f64 v[0:1], v[0:1], v[6:7]
	v_fma_f64 v[10:11], v[2:3], v[4:5], v[0:1]
	v_add_co_u32 v4, vcc_lo, 0xa000, v41
	v_add_co_ci_u32_e32 v5, vcc_lo, 0, v232, vcc_lo
	ds_read_b128 v[0:3], v40 offset:12000
	global_load_dwordx4 v[4:7], v[4:5], off offset:1040
	ds_write_b128 v40, v[8:11] offset:6000
	s_waitcnt vmcnt(0) lgkmcnt(1)
	v_mul_f64 v[8:9], v[2:3], v[6:7]
	v_fma_f64 v[8:9], v[0:1], v[4:5], -v[8:9]
	v_mul_f64 v[0:1], v[0:1], v[6:7]
	v_fma_f64 v[10:11], v[2:3], v[4:5], v[0:1]
	v_add_co_u32 v4, vcc_lo, 0xb800, v41
	v_add_co_ci_u32_e32 v5, vcc_lo, 0, v232, vcc_lo
	ds_read_b128 v[0:3], v40 offset:18000
	global_load_dwordx4 v[4:7], v[4:5], off offset:896
	ds_write_b128 v40, v[8:11] offset:12000
	;; [unrolled: 10-line block ×3, first 2 shown]
	s_waitcnt vmcnt(0) lgkmcnt(1)
	v_mul_f64 v[8:9], v[2:3], v[6:7]
	v_fma_f64 v[8:9], v[0:1], v[4:5], -v[8:9]
	v_mul_f64 v[0:1], v[0:1], v[6:7]
	v_fma_f64 v[10:11], v[2:3], v[4:5], v[0:1]
	global_load_dwordx4 v[4:7], v[12:13], off offset:2000
	ds_read_b128 v[0:3], v40 offset:2000
	ds_write_b128 v40, v[8:11] offset:24000
	s_waitcnt vmcnt(0) lgkmcnt(1)
	v_mul_f64 v[8:9], v[2:3], v[6:7]
	v_fma_f64 v[8:9], v[0:1], v[4:5], -v[8:9]
	v_mul_f64 v[0:1], v[0:1], v[6:7]
	v_fma_f64 v[10:11], v[2:3], v[4:5], v[0:1]
	v_add_co_u32 v4, vcc_lo, 0x9000, v41
	v_add_co_ci_u32_e32 v5, vcc_lo, 0, v232, vcc_lo
	ds_read_b128 v[0:3], v40 offset:8000
	global_load_dwordx4 v[4:7], v[4:5], off offset:1136
	ds_write_b128 v40, v[8:11] offset:2000
	s_waitcnt vmcnt(0) lgkmcnt(1)
	v_mul_f64 v[8:9], v[2:3], v[6:7]
	v_fma_f64 v[8:9], v[0:1], v[4:5], -v[8:9]
	v_mul_f64 v[0:1], v[0:1], v[6:7]
	v_fma_f64 v[10:11], v[2:3], v[4:5], v[0:1]
	v_add_co_u32 v4, vcc_lo, 0xa800, v41
	v_add_co_ci_u32_e32 v5, vcc_lo, 0, v232, vcc_lo
	ds_read_b128 v[0:3], v40 offset:14000
	global_load_dwordx4 v[4:7], v[4:5], off offset:992
	;; [unrolled: 10-line block ×9, first 2 shown]
	ds_write_b128 v40, v[8:11] offset:22000
	s_waitcnt vmcnt(0) lgkmcnt(1)
	v_mul_f64 v[8:9], v[2:3], v[6:7]
	v_fma_f64 v[8:9], v[0:1], v[4:5], -v[8:9]
	v_mul_f64 v[0:1], v[0:1], v[6:7]
	v_fma_f64 v[10:11], v[2:3], v[4:5], v[0:1]
	ds_write_b128 v40, v[8:11] offset:28000
	s_waitcnt lgkmcnt(0)
	s_barrier
	buffer_gl0_inv
	ds_read_b128 v[32:35], v40
	ds_read_b128 v[36:39], v40 offset:6000
	ds_read_b128 v[41:44], v40 offset:12000
	;; [unrolled: 1-line block ×14, first 2 shown]
	s_waitcnt lgkmcnt(0)
	s_barrier
	buffer_gl0_inv
	v_add_f64 v[236:237], v[32:33], v[36:37]
	v_add_f64 v[244:245], v[36:37], -v[41:42]
	v_add_f64 v[246:247], v[43:44], -v[47:48]
	;; [unrolled: 1-line block ×5, first 2 shown]
	v_add_f64 v[236:237], v[236:237], v[41:42]
	v_add_f64 v[248:249], v[244:245], v[248:249]
	;; [unrolled: 1-line block ×5, first 2 shown]
	v_fma_f64 v[236:237], v[236:237], -0.5, v[32:33]
	v_fma_f64 v[242:243], v[238:239], s[14:15], v[236:237]
	v_fma_f64 v[236:237], v[238:239], s[2:3], v[236:237]
	;; [unrolled: 1-line block ×5, first 2 shown]
	v_add_f64 v[242:243], v[36:37], v[0:1]
	v_fma_f64 v[236:237], v[248:249], s[4:5], v[236:237]
	v_add_f64 v[248:249], v[41:42], -v[36:37]
	v_add_f64 v[0:1], v[36:37], -v[0:1]
	;; [unrolled: 1-line block ×4, first 2 shown]
	v_fma_f64 v[32:33], v[242:243], -0.5, v[32:33]
	v_add_f64 v[248:249], v[248:249], v[250:251]
	v_fma_f64 v[242:243], v[246:247], s[2:3], v[32:33]
	v_fma_f64 v[32:33], v[246:247], s[14:15], v[32:33]
	;; [unrolled: 1-line block ×4, first 2 shown]
	v_add_f64 v[238:239], v[2:3], -v[47:48]
	v_fma_f64 v[252:253], v[248:249], s[4:5], v[242:243]
	v_fma_f64 v[248:249], v[248:249], s[4:5], v[32:33]
	v_add_f64 v[32:33], v[34:35], v[38:39]
	v_add_f64 v[45:46], v[45:46], v[238:239]
	;; [unrolled: 1-line block ×6, first 2 shown]
	v_fma_f64 v[32:33], v[32:33], -0.5, v[34:35]
	v_fma_f64 v[36:37], v[0:1], s[2:3], v[32:33]
	v_fma_f64 v[32:33], v[0:1], s[14:15], v[32:33]
	;; [unrolled: 1-line block ×6, first 2 shown]
	v_add_f64 v[32:33], v[38:39], v[2:3]
	v_add_f64 v[36:37], v[43:44], -v[38:39]
	v_add_f64 v[2:3], v[47:48], -v[2:3]
	v_add_f64 v[38:39], v[12:13], -v[16:17]
	v_fma_f64 v[32:33], v[32:33], -0.5, v[34:35]
	v_add_f64 v[2:3], v[36:37], v[2:3]
	v_add_f64 v[36:37], v[8:9], -v[4:5]
	v_fma_f64 v[34:35], v[41:42], s[14:15], v[32:33]
	v_fma_f64 v[32:33], v[41:42], s[2:3], v[32:33]
	v_add_f64 v[38:39], v[36:37], v[38:39]
	v_fma_f64 v[34:35], v[0:1], s[8:9], v[34:35]
	v_fma_f64 v[0:1], v[0:1], s[6:7], v[32:33]
	;; [unrolled: 1-line block ×4, first 2 shown]
	v_add_f64 v[0:1], v[28:29], v[8:9]
	v_add_f64 v[2:3], v[10:11], -v[14:15]
	v_add_f64 v[34:35], v[6:7], -v[18:19]
	ds_write_b128 v56, v[240:243]
	ds_write_b128 v56, v[244:247] offset:16
	ds_write_b128 v56, v[252:255] offset:32
	;; [unrolled: 1-line block ×4, first 2 shown]
	v_add_f64 v[0:1], v[0:1], v[4:5]
	v_add_f64 v[0:1], v[0:1], v[16:17]
	;; [unrolled: 1-line block ×4, first 2 shown]
	v_fma_f64 v[0:1], v[0:1], -0.5, v[28:29]
	v_fma_f64 v[32:33], v[2:3], s[14:15], v[0:1]
	v_fma_f64 v[0:1], v[2:3], s[2:3], v[0:1]
	;; [unrolled: 1-line block ×6, first 2 shown]
	v_add_f64 v[0:1], v[8:9], v[12:13]
	v_add_f64 v[32:33], v[4:5], -v[8:9]
	v_add_f64 v[38:39], v[16:17], -v[12:13]
	;; [unrolled: 1-line block ×4, first 2 shown]
	v_fma_f64 v[0:1], v[0:1], -0.5, v[28:29]
	v_add_f64 v[32:33], v[32:33], v[38:39]
	v_fma_f64 v[28:29], v[34:35], s[2:3], v[0:1]
	v_fma_f64 v[0:1], v[34:35], s[14:15], v[0:1]
	;; [unrolled: 1-line block ×4, first 2 shown]
	v_add_f64 v[2:3], v[8:9], -v[12:13]
	v_add_f64 v[12:13], v[10:11], -v[6:7]
	v_fma_f64 v[28:29], v[32:33], s[4:5], v[28:29]
	v_fma_f64 v[32:33], v[32:33], s[4:5], v[0:1]
	v_add_f64 v[0:1], v[30:31], v[10:11]
	v_add_f64 v[12:13], v[12:13], v[16:17]
	v_add_f64 v[16:17], v[228:229], -v[232:233]
	v_add_f64 v[0:1], v[0:1], v[6:7]
	v_add_f64 v[0:1], v[0:1], v[18:19]
	;; [unrolled: 1-line block ×4, first 2 shown]
	v_add_f64 v[6:7], v[6:7], -v[10:11]
	v_fma_f64 v[0:1], v[0:1], -0.5, v[30:31]
	v_fma_f64 v[8:9], v[2:3], s[2:3], v[0:1]
	v_fma_f64 v[0:1], v[2:3], s[14:15], v[0:1]
	;; [unrolled: 1-line block ×6, first 2 shown]
	v_add_f64 v[0:1], v[10:11], v[14:15]
	v_add_f64 v[10:11], v[18:19], -v[14:15]
	v_add_f64 v[12:13], v[232:233], -v[228:229]
	;; [unrolled: 1-line block ×4, first 2 shown]
	v_fma_f64 v[0:1], v[0:1], -0.5, v[30:31]
	v_add_f64 v[6:7], v[6:7], v[10:11]
	v_add_f64 v[10:11], v[22:23], -v[230:231]
	v_add_f64 v[14:15], v[14:15], v[16:17]
	v_fma_f64 v[8:9], v[4:5], s[14:15], v[0:1]
	v_fma_f64 v[0:1], v[4:5], s[2:3], v[0:1]
	;; [unrolled: 1-line block ×4, first 2 shown]
	v_add_f64 v[2:3], v[26:27], -v[234:235]
	v_fma_f64 v[30:31], v[6:7], s[4:5], v[8:9]
	v_fma_f64 v[34:35], v[6:7], s[4:5], v[0:1]
	v_add_f64 v[0:1], v[49:50], v[24:25]
	v_add_f64 v[8:9], v[24:25], -v[20:21]
	v_add_f64 v[0:1], v[0:1], v[20:21]
	v_add_f64 v[12:13], v[8:9], v[12:13]
	;; [unrolled: 1-line block ×5, first 2 shown]
	v_add_f64 v[20:21], v[20:21], -v[228:229]
	v_fma_f64 v[0:1], v[0:1], -0.5, v[49:50]
	v_fma_f64 v[6:7], v[2:3], s[14:15], v[0:1]
	v_fma_f64 v[0:1], v[2:3], s[2:3], v[0:1]
	;; [unrolled: 1-line block ×5, first 2 shown]
	v_add_f64 v[6:7], v[24:25], v[232:233]
	v_fma_f64 v[0:1], v[12:13], s[4:5], v[0:1]
	v_fma_f64 v[6:7], v[6:7], -0.5, v[49:50]
	v_fma_f64 v[12:13], v[10:11], s[2:3], v[6:7]
	v_fma_f64 v[6:7], v[10:11], s[14:15], v[6:7]
	;; [unrolled: 1-line block ×6, first 2 shown]
	v_add_f64 v[2:3], v[51:52], v[26:27]
	v_add_f64 v[14:15], v[24:25], -v[232:233]
	v_add_f64 v[24:25], v[234:235], -v[230:231]
	v_add_f64 v[2:3], v[2:3], v[22:23]
	v_add_f64 v[18:19], v[18:19], v[24:25]
	;; [unrolled: 1-line block ×5, first 2 shown]
	v_add_f64 v[22:23], v[22:23], -v[26:27]
	v_fma_f64 v[2:3], v[2:3], -0.5, v[51:52]
	v_fma_f64 v[10:11], v[14:15], s[2:3], v[2:3]
	v_fma_f64 v[2:3], v[14:15], s[14:15], v[2:3]
	;; [unrolled: 1-line block ×6, first 2 shown]
	v_add_f64 v[18:19], v[26:27], v[234:235]
	v_add_f64 v[26:27], v[230:231], -v[234:235]
	v_fma_f64 v[24:25], v[18:19], -0.5, v[51:52]
	v_add_f64 v[22:23], v[22:23], v[26:27]
	v_fma_f64 v[18:19], v[20:21], s[14:15], v[24:25]
	v_fma_f64 v[20:21], v[20:21], s[2:3], v[24:25]
	;; [unrolled: 1-line block ×4, first 2 shown]
	buffer_load_dword v20, off, s[20:23], 0 offset:252 ; 4-byte Folded Reload
	s_waitcnt vmcnt(0)
	ds_write_b128 v20, v[41:44]
	ds_write_b128 v20, v[36:39] offset:16
	ds_write_b128 v20, v[28:31] offset:32
	;; [unrolled: 1-line block ×4, first 2 shown]
	buffer_load_dword v20, off, s[20:23], 0 offset:248 ; 4-byte Folded Reload
	v_fma_f64 v[18:19], v[22:23], s[4:5], v[18:19]
	v_fma_f64 v[14:15], v[22:23], s[4:5], v[14:15]
	s_waitcnt vmcnt(0)
	ds_write_b128 v20, v[4:7]
	ds_write_b128 v20, v[8:11] offset:16
	ds_write_b128 v20, v[16:19] offset:32
	;; [unrolled: 1-line block ×4, first 2 shown]
	s_waitcnt lgkmcnt(0)
	s_barrier
	buffer_gl0_inv
	ds_read_b128 v[12:15], v40
	ds_read_b128 v[0:3], v40 offset:6000
	ds_read_b128 v[4:7], v40 offset:12000
	;; [unrolled: 1-line block ×14, first 2 shown]
	s_waitcnt lgkmcnt(0)
	s_barrier
	buffer_gl0_inv
	v_mul_f64 v[56:57], v[82:83], v[2:3]
	v_fma_f64 v[56:57], v[80:81], v[0:1], v[56:57]
	v_mul_f64 v[0:1], v[82:83], v[0:1]
	v_fma_f64 v[80:81], v[80:81], v[2:3], -v[0:1]
	v_mul_f64 v[0:1], v[70:71], v[6:7]
	v_fma_f64 v[2:3], v[68:69], v[4:5], v[0:1]
	v_mul_f64 v[0:1], v[70:71], v[4:5]
	v_fma_f64 v[68:69], v[68:69], v[6:7], -v[0:1]
	;; [unrolled: 4-line block ×3, first 2 shown]
	v_mul_f64 v[0:1], v[62:63], v[22:23]
	v_fma_f64 v[18:19], v[60:61], v[20:21], v[0:1]
	v_mul_f64 v[0:1], v[62:63], v[20:21]
	v_add_f64 v[62:63], v[18:19], -v[70:71]
	v_fma_f64 v[20:21], v[60:61], v[22:23], -v[0:1]
	v_mul_f64 v[0:1], v[90:91], v[26:27]
	v_add_f64 v[60:61], v[56:57], -v[2:3]
	v_add_f64 v[64:65], v[70:71], -v[18:19]
	;; [unrolled: 1-line block ×3, first 2 shown]
	v_fma_f64 v[22:23], v[88:89], v[24:25], v[0:1]
	v_mul_f64 v[0:1], v[90:91], v[24:25]
	v_add_f64 v[62:63], v[60:61], v[62:63]
	v_fma_f64 v[26:27], v[88:89], v[26:27], -v[0:1]
	v_mul_f64 v[0:1], v[86:87], v[30:31]
	v_fma_f64 v[82:83], v[84:85], v[28:29], v[0:1]
	v_mul_f64 v[0:1], v[86:87], v[28:29]
	v_add_f64 v[28:29], v[68:69], -v[16:17]
	v_fma_f64 v[30:31], v[84:85], v[30:31], -v[0:1]
	v_mul_f64 v[0:1], v[78:79], v[38:39]
	v_fma_f64 v[84:85], v[76:77], v[36:37], v[0:1]
	v_mul_f64 v[0:1], v[78:79], v[36:37]
	v_fma_f64 v[36:37], v[76:77], v[38:39], -v[0:1]
	v_mul_f64 v[0:1], v[74:75], v[43:44]
	v_fma_f64 v[38:39], v[72:73], v[41:42], v[0:1]
	v_mul_f64 v[0:1], v[74:75], v[41:42]
	;; [unrolled: 4-line block ×6, first 2 shown]
	v_fma_f64 v[88:89], v[92:93], v[234:235], -v[0:1]
	v_add_f64 v[0:1], v[12:13], v[56:57]
	v_add_f64 v[0:1], v[0:1], v[2:3]
	;; [unrolled: 1-line block ×5, first 2 shown]
	v_fma_f64 v[0:1], v[0:1], -0.5, v[12:13]
	v_fma_f64 v[24:25], v[6:7], s[14:15], v[0:1]
	v_fma_f64 v[0:1], v[6:7], s[2:3], v[0:1]
	;; [unrolled: 1-line block ×5, first 2 shown]
	v_add_f64 v[24:25], v[56:57], v[18:19]
	v_fma_f64 v[0:1], v[62:63], s[4:5], v[0:1]
	v_add_f64 v[62:63], v[2:3], -v[56:57]
	v_add_f64 v[18:19], v[56:57], -v[18:19]
	;; [unrolled: 1-line block ×3, first 2 shown]
	v_fma_f64 v[12:13], v[24:25], -0.5, v[12:13]
	v_add_f64 v[62:63], v[62:63], v[64:65]
	v_fma_f64 v[24:25], v[28:29], s[2:3], v[12:13]
	v_fma_f64 v[12:13], v[28:29], s[14:15], v[12:13]
	v_add_f64 v[28:29], v[2:3], -v[70:71]
	v_fma_f64 v[24:25], v[6:7], s[6:7], v[24:25]
	v_fma_f64 v[6:7], v[6:7], s[8:9], v[12:13]
	v_add_f64 v[12:13], v[68:69], v[16:17]
	v_fma_f64 v[72:73], v[62:63], s[4:5], v[24:25]
	v_fma_f64 v[64:65], v[62:63], s[4:5], v[6:7]
	v_fma_f64 v[12:13], v[12:13], -0.5, v[14:15]
	v_add_f64 v[6:7], v[14:15], v[80:81]
	v_fma_f64 v[24:25], v[18:19], s[2:3], v[12:13]
	v_add_f64 v[6:7], v[6:7], v[68:69]
	v_fma_f64 v[2:3], v[28:29], s[8:9], v[24:25]
	v_add_f64 v[24:25], v[80:81], -v[68:69]
	v_add_f64 v[6:7], v[6:7], v[16:17]
	v_add_f64 v[16:17], v[16:17], -v[20:21]
	v_add_f64 v[24:25], v[24:25], v[56:57]
	v_add_f64 v[6:7], v[6:7], v[20:21]
	v_add_f64 v[56:57], v[84:85], -v[38:39]
	v_fma_f64 v[62:63], v[24:25], s[4:5], v[2:3]
	v_fma_f64 v[2:3], v[18:19], s[14:15], v[12:13]
	v_add_f64 v[12:13], v[80:81], v[20:21]
	v_add_f64 v[20:21], v[22:23], -v[82:83]
	v_fma_f64 v[2:3], v[28:29], s[6:7], v[2:3]
	v_fma_f64 v[12:13], v[12:13], -0.5, v[14:15]
	v_fma_f64 v[2:3], v[24:25], s[4:5], v[2:3]
	v_fma_f64 v[14:15], v[28:29], s[14:15], v[12:13]
	v_add_f64 v[24:25], v[68:69], -v[80:81]
	v_fma_f64 v[12:13], v[28:29], s[2:3], v[12:13]
	v_add_f64 v[28:29], v[38:39], -v[84:85]
	v_add_f64 v[68:69], v[41:42], -v[36:37]
	v_fma_f64 v[14:15], v[18:19], s[8:9], v[14:15]
	v_add_f64 v[16:17], v[24:25], v[16:17]
	v_fma_f64 v[12:13], v[18:19], s[6:7], v[12:13]
	v_add_f64 v[24:25], v[30:31], -v[36:37]
	v_add_f64 v[28:29], v[20:21], v[28:29]
	v_fma_f64 v[74:75], v[16:17], s[4:5], v[14:15]
	v_fma_f64 v[66:67], v[16:17], s[4:5], v[12:13]
	v_add_f64 v[12:13], v[8:9], v[22:23]
	v_add_f64 v[14:15], v[26:27], -v[41:42]
	v_add_f64 v[12:13], v[12:13], v[82:83]
	v_add_f64 v[12:13], v[12:13], v[84:85]
	;; [unrolled: 1-line block ×4, first 2 shown]
	v_fma_f64 v[12:13], v[12:13], -0.5, v[8:9]
	v_fma_f64 v[18:19], v[14:15], s[14:15], v[12:13]
	v_fma_f64 v[12:13], v[14:15], s[2:3], v[12:13]
	;; [unrolled: 1-line block ×5, first 2 shown]
	v_add_f64 v[18:19], v[22:23], v[38:39]
	v_fma_f64 v[12:13], v[28:29], s[4:5], v[12:13]
	v_add_f64 v[28:29], v[82:83], -v[22:23]
	v_add_f64 v[38:39], v[22:23], -v[38:39]
	;; [unrolled: 1-line block ×3, first 2 shown]
	v_fma_f64 v[8:9], v[18:19], -0.5, v[8:9]
	v_add_f64 v[56:57], v[28:29], v[56:57]
	v_add_f64 v[68:69], v[22:23], v[68:69]
	v_fma_f64 v[18:19], v[24:25], s[2:3], v[8:9]
	v_fma_f64 v[8:9], v[24:25], s[14:15], v[8:9]
	;; [unrolled: 1-line block ×6, first 2 shown]
	v_add_f64 v[8:9], v[10:11], v[26:27]
	v_add_f64 v[56:57], v[82:83], -v[84:85]
	v_add_f64 v[8:9], v[8:9], v[30:31]
	v_add_f64 v[8:9], v[8:9], v[36:37]
	;; [unrolled: 1-line block ×4, first 2 shown]
	v_fma_f64 v[8:9], v[8:9], -0.5, v[10:11]
	v_fma_f64 v[14:15], v[38:39], s[2:3], v[8:9]
	v_fma_f64 v[8:9], v[38:39], s[14:15], v[8:9]
	;; [unrolled: 1-line block ×6, first 2 shown]
	v_add_f64 v[8:9], v[26:27], v[41:42]
	v_add_f64 v[26:27], v[30:31], -v[26:27]
	v_add_f64 v[30:31], v[36:37], -v[41:42]
	;; [unrolled: 1-line block ×3, first 2 shown]
	v_fma_f64 v[8:9], v[8:9], -0.5, v[10:11]
	v_add_f64 v[26:27], v[26:27], v[30:31]
	v_fma_f64 v[10:11], v[56:57], s[14:15], v[8:9]
	v_fma_f64 v[8:9], v[56:57], s[2:3], v[8:9]
	v_add_f64 v[56:57], v[78:79], -v[51:52]
	v_fma_f64 v[10:11], v[38:39], s[8:9], v[10:11]
	v_fma_f64 v[8:9], v[38:39], s[6:7], v[8:9]
	v_add_f64 v[38:39], v[49:50], -v[86:87]
	v_add_f64 v[41:42], v[41:42], v[56:57]
	v_add_f64 v[56:57], v[51:52], -v[78:79]
	v_fma_f64 v[30:31], v[26:27], s[4:5], v[10:11]
	v_fma_f64 v[26:27], v[26:27], s[4:5], v[8:9]
	v_add_f64 v[8:9], v[32:33], v[43:44]
	v_add_f64 v[10:11], v[45:46], -v[88:89]
	v_add_f64 v[8:9], v[8:9], v[47:48]
	v_add_f64 v[8:9], v[8:9], v[51:52]
	;; [unrolled: 1-line block ×4, first 2 shown]
	v_fma_f64 v[8:9], v[8:9], -0.5, v[32:33]
	v_fma_f64 v[36:37], v[10:11], s[14:15], v[8:9]
	v_fma_f64 v[8:9], v[10:11], s[2:3], v[8:9]
	;; [unrolled: 1-line block ×5, first 2 shown]
	v_add_f64 v[36:37], v[43:44], v[78:79]
	v_fma_f64 v[8:9], v[41:42], s[4:5], v[8:9]
	v_add_f64 v[41:42], v[47:48], -v[43:44]
	v_fma_f64 v[32:33], v[36:37], -0.5, v[32:33]
	v_add_f64 v[41:42], v[41:42], v[56:57]
	v_fma_f64 v[36:37], v[38:39], s[2:3], v[32:33]
	v_fma_f64 v[32:33], v[38:39], s[14:15], v[32:33]
	v_add_f64 v[38:39], v[47:48], -v[51:52]
	v_fma_f64 v[36:37], v[10:11], s[6:7], v[36:37]
	v_fma_f64 v[10:11], v[10:11], s[8:9], v[32:33]
	v_add_f64 v[32:33], v[43:44], -v[78:79]
	v_add_f64 v[43:44], v[88:89], -v[86:87]
	v_fma_f64 v[84:85], v[41:42], s[4:5], v[36:37]
	v_fma_f64 v[80:81], v[41:42], s[4:5], v[10:11]
	v_add_f64 v[10:11], v[34:35], v[45:46]
	v_add_f64 v[41:42], v[45:46], -v[49:50]
	v_add_f64 v[10:11], v[10:11], v[49:50]
	v_add_f64 v[41:42], v[41:42], v[43:44]
	v_add_f64 v[43:44], v[86:87], -v[88:89]
	v_add_f64 v[10:11], v[10:11], v[86:87]
	v_add_f64 v[70:71], v[10:11], v[88:89]
	;; [unrolled: 1-line block ×3, first 2 shown]
	v_fma_f64 v[10:11], v[10:11], -0.5, v[34:35]
	v_fma_f64 v[36:37], v[32:33], s[2:3], v[10:11]
	v_fma_f64 v[10:11], v[32:33], s[14:15], v[10:11]
	;; [unrolled: 1-line block ×5, first 2 shown]
	v_add_f64 v[36:37], v[45:46], v[88:89]
	v_fma_f64 v[10:11], v[41:42], s[4:5], v[10:11]
	v_add_f64 v[41:42], v[49:50], -v[45:46]
	v_fma_f64 v[34:35], v[36:37], -0.5, v[34:35]
	v_add_f64 v[41:42], v[41:42], v[43:44]
	v_fma_f64 v[36:37], v[38:39], s[14:15], v[34:35]
	v_fma_f64 v[34:35], v[38:39], s[2:3], v[34:35]
	;; [unrolled: 1-line block ×6, first 2 shown]
	buffer_load_dword v32, off, s[20:23], 0 offset:264 ; 4-byte Folded Reload
	s_waitcnt vmcnt(0)
	ds_write_b128 v32, v[4:7]
	ds_write_b128 v32, v[60:63] offset:80
	ds_write_b128 v32, v[72:75] offset:160
	;; [unrolled: 1-line block ×4, first 2 shown]
	buffer_load_dword v0, off, s[20:23], 0 offset:256 ; 4-byte Folded Reload
	s_waitcnt vmcnt(0)
	ds_write_b128 v0, v[16:19]
	ds_write_b128 v0, v[20:23] offset:80
	ds_write_b128 v0, v[28:31] offset:160
	;; [unrolled: 1-line block ×4, first 2 shown]
	ds_write_b128 v53, v[68:71]
	ds_write_b128 v53, v[76:79] offset:80
	ds_write_b128 v53, v[84:87] offset:160
	;; [unrolled: 1-line block ×4, first 2 shown]
	s_waitcnt lgkmcnt(0)
	s_barrier
	buffer_gl0_inv
	ds_read_b128 v[2:5], v40
	ds_read_b128 v[6:9], v40 offset:6000
	ds_read_b128 v[10:13], v40 offset:12000
	;; [unrolled: 1-line block ×14, first 2 shown]
	s_waitcnt lgkmcnt(0)
	s_barrier
	buffer_gl0_inv
	v_mul_f64 v[0:1], v[122:123], v[8:9]
	v_fma_f64 v[38:39], v[120:121], v[6:7], v[0:1]
	v_mul_f64 v[0:1], v[122:123], v[6:7]
	v_fma_f64 v[6:7], v[120:121], v[8:9], -v[0:1]
	v_mul_f64 v[0:1], v[114:115], v[12:13]
	v_fma_f64 v[56:57], v[112:113], v[10:11], v[0:1]
	v_mul_f64 v[0:1], v[114:115], v[10:11]
	v_fma_f64 v[72:73], v[112:113], v[12:13], -v[0:1]
	v_mul_f64 v[0:1], v[106:107], v[16:17]
	v_fma_f64 v[10:11], v[104:105], v[14:15], v[0:1]
	v_mul_f64 v[0:1], v[106:107], v[14:15]
	v_add_f64 v[8:9], v[56:57], v[10:11]
	v_fma_f64 v[16:17], v[104:105], v[16:17], -v[0:1]
	v_mul_f64 v[0:1], v[98:99], v[20:21]
	v_fma_f64 v[8:9], v[8:9], -0.5, v[2:3]
	v_fma_f64 v[14:15], v[96:97], v[18:19], v[0:1]
	v_mul_f64 v[0:1], v[98:99], v[18:19]
	v_fma_f64 v[18:19], v[96:97], v[20:21], -v[0:1]
	v_mul_f64 v[0:1], v[138:139], v[28:29]
	v_fma_f64 v[20:21], v[136:137], v[26:27], v[0:1]
	v_mul_f64 v[0:1], v[138:139], v[26:27]
	v_fma_f64 v[26:27], v[136:137], v[28:29], -v[0:1]
	v_mul_f64 v[0:1], v[130:131], v[32:33]
	;; [unrolled: 4-line block ×3, first 2 shown]
	v_add_f64 v[32:33], v[38:39], -v[56:57]
	v_fma_f64 v[74:75], v[124:125], v[34:35], v[0:1]
	v_mul_f64 v[0:1], v[126:127], v[34:35]
	v_add_f64 v[34:35], v[6:7], -v[18:19]
	v_fma_f64 v[76:77], v[124:125], v[36:37], -v[0:1]
	v_mul_f64 v[0:1], v[118:119], v[43:44]
	v_fma_f64 v[12:13], v[34:35], s[14:15], v[8:9]
	v_add_f64 v[36:37], v[72:73], -v[16:17]
	v_fma_f64 v[8:9], v[34:35], s[2:3], v[8:9]
	v_fma_f64 v[78:79], v[116:117], v[41:42], v[0:1]
	v_mul_f64 v[0:1], v[118:119], v[41:42]
	v_add_f64 v[41:42], v[14:15], -v[10:11]
	v_fma_f64 v[12:13], v[36:37], s[6:7], v[12:13]
	v_fma_f64 v[8:9], v[36:37], s[8:9], v[8:9]
	v_fma_f64 v[80:81], v[116:117], v[43:44], -v[0:1]
	v_mul_f64 v[0:1], v[154:155], v[51:52]
	v_add_f64 v[32:33], v[32:33], v[41:42]
	v_add_f64 v[41:42], v[56:57], -v[38:39]
	v_add_f64 v[43:44], v[10:11], -v[14:15]
	v_fma_f64 v[82:83], v[152:153], v[49:50], v[0:1]
	v_mul_f64 v[0:1], v[154:155], v[49:50]
	v_fma_f64 v[12:13], v[32:33], s[4:5], v[12:13]
	v_fma_f64 v[8:9], v[32:33], s[4:5], v[8:9]
	v_add_f64 v[32:33], v[38:39], v[14:15]
	v_add_f64 v[41:42], v[41:42], v[43:44]
	v_add_f64 v[43:44], v[18:19], -v[16:17]
	v_add_f64 v[49:50], v[78:79], -v[74:75]
	v_fma_f64 v[84:85], v[152:153], v[51:52], -v[0:1]
	v_mul_f64 v[0:1], v[150:151], v[62:63]
	v_fma_f64 v[86:87], v[148:149], v[60:61], v[0:1]
	v_mul_f64 v[0:1], v[150:151], v[60:61]
	v_fma_f64 v[88:89], v[148:149], v[62:63], -v[0:1]
	v_mul_f64 v[0:1], v[146:147], v[66:67]
	v_fma_f64 v[90:91], v[144:145], v[64:65], v[0:1]
	v_mul_f64 v[0:1], v[146:147], v[64:65]
	;; [unrolled: 4-line block ×3, first 2 shown]
	v_fma_f64 v[96:97], v[140:141], v[70:71], -v[0:1]
	v_add_f64 v[0:1], v[2:3], v[38:39]
	v_fma_f64 v[2:3], v[32:33], -0.5, v[2:3]
	v_add_f64 v[38:39], v[38:39], -v[14:15]
	v_add_f64 v[0:1], v[0:1], v[56:57]
	v_fma_f64 v[32:33], v[36:37], s[2:3], v[2:3]
	v_fma_f64 v[2:3], v[36:37], s[14:15], v[2:3]
	v_add_f64 v[0:1], v[0:1], v[10:11]
	v_fma_f64 v[32:33], v[34:35], s[6:7], v[32:33]
	v_fma_f64 v[2:3], v[34:35], s[8:9], v[2:3]
	v_add_f64 v[34:35], v[72:73], v[16:17]
	v_add_f64 v[0:1], v[0:1], v[14:15]
	v_fma_f64 v[32:33], v[41:42], s[4:5], v[32:33]
	v_fma_f64 v[36:37], v[41:42], s[4:5], v[2:3]
	v_fma_f64 v[34:35], v[34:35], -0.5, v[4:5]
	v_add_f64 v[41:42], v[56:57], -v[10:11]
	v_add_f64 v[2:3], v[4:5], v[6:7]
	v_add_f64 v[56:57], v[96:97], -v[92:93]
	v_fma_f64 v[14:15], v[38:39], s[2:3], v[34:35]
	v_add_f64 v[2:3], v[2:3], v[72:73]
	v_fma_f64 v[10:11], v[41:42], s[8:9], v[14:15]
	v_add_f64 v[14:15], v[6:7], -v[72:73]
	v_add_f64 v[2:3], v[2:3], v[16:17]
	v_add_f64 v[16:17], v[16:17], -v[18:19]
	v_add_f64 v[43:44], v[14:15], v[43:44]
	v_add_f64 v[2:3], v[2:3], v[18:19]
	v_fma_f64 v[14:15], v[43:44], s[4:5], v[10:11]
	v_fma_f64 v[10:11], v[38:39], s[14:15], v[34:35]
	v_add_f64 v[34:35], v[6:7], v[18:19]
	v_add_f64 v[6:7], v[72:73], -v[6:7]
	v_add_f64 v[18:19], v[30:31], -v[76:77]
	;; [unrolled: 1-line block ×3, first 2 shown]
	v_fma_f64 v[10:11], v[41:42], s[6:7], v[10:11]
	v_fma_f64 v[4:5], v[34:35], -0.5, v[4:5]
	v_add_f64 v[6:7], v[6:7], v[16:17]
	v_fma_f64 v[10:11], v[43:44], s[4:5], v[10:11]
	v_fma_f64 v[34:35], v[41:42], s[14:15], v[4:5]
	;; [unrolled: 1-line block ×3, first 2 shown]
	v_add_f64 v[43:44], v[20:21], -v[28:29]
	v_fma_f64 v[34:35], v[38:39], s[8:9], v[34:35]
	v_fma_f64 v[4:5], v[38:39], s[6:7], v[4:5]
	v_add_f64 v[43:44], v[43:44], v[49:50]
	v_fma_f64 v[34:35], v[6:7], s[4:5], v[34:35]
	v_fma_f64 v[38:39], v[6:7], s[4:5], v[4:5]
	v_add_f64 v[4:5], v[22:23], v[20:21]
	v_add_f64 v[6:7], v[26:27], -v[80:81]
	v_add_f64 v[4:5], v[4:5], v[28:29]
	v_add_f64 v[4:5], v[4:5], v[74:75]
	;; [unrolled: 1-line block ×4, first 2 shown]
	v_fma_f64 v[4:5], v[4:5], -0.5, v[22:23]
	v_fma_f64 v[16:17], v[6:7], s[14:15], v[4:5]
	v_fma_f64 v[4:5], v[6:7], s[2:3], v[4:5]
	;; [unrolled: 1-line block ×6, first 2 shown]
	v_add_f64 v[4:5], v[20:21], v[78:79]
	v_add_f64 v[43:44], v[74:75], -v[78:79]
	v_fma_f64 v[4:5], v[4:5], -0.5, v[22:23]
	v_add_f64 v[22:23], v[28:29], -v[20:21]
	v_fma_f64 v[16:17], v[18:19], s[2:3], v[4:5]
	v_fma_f64 v[4:5], v[18:19], s[14:15], v[4:5]
	v_add_f64 v[22:23], v[22:23], v[43:44]
	v_add_f64 v[18:19], v[28:29], -v[74:75]
	v_add_f64 v[28:29], v[90:91], -v[94:95]
	v_fma_f64 v[16:17], v[6:7], s[6:7], v[16:17]
	v_fma_f64 v[4:5], v[6:7], s[8:9], v[4:5]
	v_add_f64 v[6:7], v[20:21], -v[78:79]
	v_add_f64 v[20:21], v[26:27], -v[30:31]
	v_fma_f64 v[64:65], v[22:23], s[4:5], v[16:17]
	v_fma_f64 v[68:69], v[22:23], s[4:5], v[4:5]
	v_add_f64 v[4:5], v[24:25], v[26:27]
	v_add_f64 v[22:23], v[80:81], -v[76:77]
	v_add_f64 v[4:5], v[4:5], v[30:31]
	v_add_f64 v[20:21], v[20:21], v[22:23]
	v_add_f64 v[22:23], v[76:77], -v[80:81]
	v_add_f64 v[4:5], v[4:5], v[76:77]
	v_add_f64 v[43:44], v[4:5], v[80:81]
	;; [unrolled: 1-line block ×3, first 2 shown]
	v_fma_f64 v[4:5], v[4:5], -0.5, v[24:25]
	v_fma_f64 v[16:17], v[6:7], s[2:3], v[4:5]
	v_fma_f64 v[4:5], v[6:7], s[14:15], v[4:5]
	;; [unrolled: 1-line block ×6, first 2 shown]
	v_add_f64 v[4:5], v[26:27], v[80:81]
	v_add_f64 v[20:21], v[30:31], -v[26:27]
	v_add_f64 v[26:27], v[86:87], -v[82:83]
	;; [unrolled: 1-line block ×3, first 2 shown]
	v_fma_f64 v[4:5], v[4:5], -0.5, v[24:25]
	v_add_f64 v[20:21], v[20:21], v[22:23]
	v_add_f64 v[22:23], v[88:89], -v[92:93]
	v_add_f64 v[24:25], v[94:95], -v[90:91]
	v_add_f64 v[26:27], v[26:27], v[28:29]
	v_fma_f64 v[16:17], v[18:19], s[14:15], v[4:5]
	v_fma_f64 v[4:5], v[18:19], s[2:3], v[4:5]
	v_add_f64 v[18:19], v[84:85], -v[96:97]
	v_fma_f64 v[16:17], v[6:7], s[8:9], v[16:17]
	v_fma_f64 v[4:5], v[6:7], s[6:7], v[4:5]
	v_add_f64 v[6:7], v[86:87], v[90:91]
	v_fma_f64 v[66:67], v[20:21], s[4:5], v[16:17]
	v_fma_f64 v[70:71], v[20:21], s[4:5], v[4:5]
	v_fma_f64 v[6:7], v[6:7], -0.5, v[45:46]
	v_add_f64 v[20:21], v[82:83], -v[86:87]
	v_add_f64 v[4:5], v[45:46], v[82:83]
	v_fma_f64 v[16:17], v[18:19], s[14:15], v[6:7]
	v_fma_f64 v[6:7], v[18:19], s[2:3], v[6:7]
	v_add_f64 v[24:25], v[20:21], v[24:25]
	v_add_f64 v[4:5], v[4:5], v[86:87]
	v_fma_f64 v[16:17], v[22:23], s[6:7], v[16:17]
	v_fma_f64 v[6:7], v[22:23], s[8:9], v[6:7]
	v_add_f64 v[4:5], v[4:5], v[90:91]
	v_fma_f64 v[20:21], v[24:25], s[4:5], v[16:17]
	v_fma_f64 v[16:17], v[24:25], s[4:5], v[6:7]
	v_add_f64 v[6:7], v[82:83], v[94:95]
	v_add_f64 v[4:5], v[4:5], v[94:95]
	v_fma_f64 v[6:7], v[6:7], -0.5, v[45:46]
	v_add_f64 v[45:46], v[86:87], -v[90:91]
	v_fma_f64 v[24:25], v[22:23], s[2:3], v[6:7]
	v_fma_f64 v[6:7], v[22:23], s[14:15], v[6:7]
	v_fma_f64 v[24:25], v[18:19], s[6:7], v[24:25]
	v_fma_f64 v[6:7], v[18:19], s[8:9], v[6:7]
	v_add_f64 v[18:19], v[88:89], v[92:93]
	v_fma_f64 v[24:25], v[26:27], s[4:5], v[24:25]
	v_fma_f64 v[28:29], v[26:27], s[4:5], v[6:7]
	v_fma_f64 v[18:19], v[18:19], -0.5, v[47:48]
	v_add_f64 v[26:27], v[84:85], -v[88:89]
	v_add_f64 v[6:7], v[47:48], v[84:85]
	v_fma_f64 v[22:23], v[30:31], s[2:3], v[18:19]
	v_fma_f64 v[18:19], v[30:31], s[14:15], v[18:19]
	v_add_f64 v[26:27], v[26:27], v[56:57]
	v_add_f64 v[6:7], v[6:7], v[88:89]
	v_add_f64 v[56:57], v[88:89], -v[84:85]
	v_fma_f64 v[22:23], v[45:46], s[8:9], v[22:23]
	v_fma_f64 v[18:19], v[45:46], s[6:7], v[18:19]
	v_add_f64 v[6:7], v[6:7], v[92:93]
	v_add_f64 v[56:57], v[56:57], v[72:73]
	v_fma_f64 v[22:23], v[26:27], s[4:5], v[22:23]
	v_fma_f64 v[18:19], v[26:27], s[4:5], v[18:19]
	v_add_f64 v[26:27], v[84:85], v[96:97]
	v_add_f64 v[6:7], v[6:7], v[96:97]
	v_fma_f64 v[47:48], v[26:27], -0.5, v[47:48]
	v_fma_f64 v[26:27], v[45:46], s[14:15], v[47:48]
	v_fma_f64 v[45:46], v[45:46], s[2:3], v[47:48]
	;; [unrolled: 1-line block ×6, first 2 shown]
	ds_write_b128 v58, v[0:3]
	ds_write_b128 v58, v[12:15] offset:400
	ds_write_b128 v58, v[32:35] offset:800
	ds_write_b128 v58, v[36:39] offset:1200
	ds_write_b128 v58, v[8:11] offset:1600
	ds_write_b128 v55, v[41:44]
	ds_write_b128 v55, v[49:52] offset:400
	ds_write_b128 v55, v[64:67] offset:800
	ds_write_b128 v55, v[68:71] offset:1200
	ds_write_b128 v55, v[60:63] offset:1600
	;; [unrolled: 5-line block ×3, first 2 shown]
	s_waitcnt lgkmcnt(0)
	s_barrier
	buffer_gl0_inv
	ds_read_b128 v[16:19], v40
	ds_read_b128 v[0:3], v40 offset:6000
	ds_read_b128 v[8:11], v40 offset:12000
	;; [unrolled: 1-line block ×14, first 2 shown]
	s_waitcnt lgkmcnt(0)
	s_barrier
	buffer_gl0_inv
	v_mul_f64 v[57:58], v[170:171], v[2:3]
	v_fma_f64 v[57:58], v[168:169], v[0:1], v[57:58]
	v_mul_f64 v[0:1], v[170:171], v[0:1]
	v_fma_f64 v[64:65], v[168:169], v[2:3], -v[0:1]
	v_mul_f64 v[0:1], v[166:167], v[10:11]
	v_fma_f64 v[66:67], v[164:165], v[8:9], v[0:1]
	v_mul_f64 v[0:1], v[166:167], v[8:9]
	v_fma_f64 v[68:69], v[164:165], v[10:11], -v[0:1]
	v_mul_f64 v[0:1], v[162:163], v[14:15]
	v_fma_f64 v[10:11], v[160:161], v[12:13], v[0:1]
	v_mul_f64 v[0:1], v[162:163], v[12:13]
	v_add_f64 v[12:13], v[57:58], -v[66:67]
	v_add_f64 v[2:3], v[66:67], v[10:11]
	v_fma_f64 v[70:71], v[160:161], v[14:15], -v[0:1]
	v_mul_f64 v[0:1], v[158:159], v[22:23]
	v_fma_f64 v[2:3], v[2:3], -0.5, v[16:17]
	v_fma_f64 v[14:15], v[156:157], v[20:21], v[0:1]
	v_mul_f64 v[0:1], v[158:159], v[20:21]
	v_fma_f64 v[22:23], v[156:157], v[22:23], -v[0:1]
	v_mul_f64 v[0:1], v[170:171], v[30:31]
	v_add_f64 v[20:21], v[64:65], -v[22:23]
	v_fma_f64 v[72:73], v[168:169], v[28:29], v[0:1]
	v_mul_f64 v[0:1], v[170:171], v[28:29]
	v_fma_f64 v[8:9], v[20:21], s[14:15], v[2:3]
	v_fma_f64 v[2:3], v[20:21], s[2:3], v[2:3]
	v_fma_f64 v[74:75], v[168:169], v[30:31], -v[0:1]
	v_mul_f64 v[0:1], v[166:167], v[34:35]
	v_fma_f64 v[76:77], v[164:165], v[32:33], v[0:1]
	v_mul_f64 v[0:1], v[166:167], v[32:33]
	v_fma_f64 v[78:79], v[164:165], v[34:35], -v[0:1]
	v_mul_f64 v[0:1], v[162:163], v[38:39]
	v_fma_f64 v[80:81], v[160:161], v[36:37], v[0:1]
	v_mul_f64 v[0:1], v[162:163], v[36:37]
	;; [unrolled: 4-line block ×3, first 2 shown]
	v_fma_f64 v[86:87], v[156:157], v[43:44], -v[0:1]
	v_mul_f64 v[0:1], v[186:187], v[47:48]
	v_add_f64 v[43:44], v[68:69], -v[70:71]
	v_fma_f64 v[36:37], v[184:185], v[45:46], v[0:1]
	v_mul_f64 v[0:1], v[186:187], v[45:46]
	v_add_f64 v[45:46], v[14:15], -v[10:11]
	v_fma_f64 v[8:9], v[43:44], s[6:7], v[8:9]
	v_fma_f64 v[2:3], v[43:44], s[8:9], v[2:3]
	v_fma_f64 v[28:29], v[184:185], v[47:48], -v[0:1]
	v_mul_f64 v[0:1], v[182:183], v[51:52]
	v_add_f64 v[45:46], v[12:13], v[45:46]
	v_add_f64 v[47:48], v[10:11], -v[14:15]
	v_fma_f64 v[38:39], v[180:181], v[49:50], v[0:1]
	v_mul_f64 v[0:1], v[182:183], v[49:50]
	v_fma_f64 v[12:13], v[45:46], s[4:5], v[8:9]
	v_fma_f64 v[8:9], v[45:46], s[4:5], v[2:3]
	v_add_f64 v[2:3], v[57:58], v[14:15]
	v_add_f64 v[45:46], v[66:67], -v[57:58]
	v_add_f64 v[49:50], v[22:23], -v[70:71]
	v_fma_f64 v[30:31], v[180:181], v[51:52], -v[0:1]
	v_mul_f64 v[0:1], v[178:179], v[55:56]
	v_add_f64 v[51:52], v[72:73], -v[76:77]
	v_fma_f64 v[2:3], v[2:3], -0.5, v[16:17]
	v_add_f64 v[45:46], v[45:46], v[47:48]
	v_add_f64 v[47:48], v[66:67], -v[10:11]
	v_fma_f64 v[41:42], v[176:177], v[53:54], v[0:1]
	v_mul_f64 v[0:1], v[178:179], v[53:54]
	v_add_f64 v[53:54], v[78:79], -v[82:83]
	v_fma_f64 v[32:33], v[176:177], v[55:56], -v[0:1]
	v_mul_f64 v[0:1], v[174:175], v[62:63]
	v_add_f64 v[55:56], v[84:85], -v[80:81]
	v_fma_f64 v[88:89], v[172:173], v[60:61], v[0:1]
	v_mul_f64 v[0:1], v[174:175], v[60:61]
	v_add_f64 v[51:52], v[51:52], v[55:56]
	v_add_f64 v[55:56], v[76:77], -v[72:73]
	v_add_f64 v[60:61], v[76:77], -v[80:81]
	v_fma_f64 v[34:35], v[172:173], v[62:63], -v[0:1]
	v_add_f64 v[0:1], v[16:17], v[57:58]
	v_fma_f64 v[16:17], v[43:44], s[2:3], v[2:3]
	v_fma_f64 v[2:3], v[43:44], s[14:15], v[2:3]
	v_add_f64 v[43:44], v[68:69], v[70:71]
	v_add_f64 v[62:63], v[74:75], -v[78:79]
	v_add_f64 v[0:1], v[0:1], v[66:67]
	v_fma_f64 v[16:17], v[20:21], s[6:7], v[16:17]
	v_fma_f64 v[2:3], v[20:21], s[8:9], v[2:3]
	v_fma_f64 v[43:44], v[43:44], -0.5, v[18:19]
	v_add_f64 v[66:67], v[82:83], -v[86:87]
	v_add_f64 v[0:1], v[0:1], v[10:11]
	v_fma_f64 v[16:17], v[45:46], s[4:5], v[16:17]
	v_fma_f64 v[20:21], v[45:46], s[4:5], v[2:3]
	v_add_f64 v[45:46], v[57:58], -v[14:15]
	v_add_f64 v[2:3], v[18:19], v[64:65]
	v_add_f64 v[57:58], v[80:81], -v[84:85]
	v_add_f64 v[0:1], v[0:1], v[14:15]
	v_fma_f64 v[14:15], v[45:46], s[2:3], v[43:44]
	v_add_f64 v[2:3], v[2:3], v[68:69]
	v_add_f64 v[55:56], v[55:56], v[57:58]
	v_add_f64 v[57:58], v[72:73], -v[84:85]
	v_fma_f64 v[10:11], v[47:48], s[8:9], v[14:15]
	v_add_f64 v[14:15], v[64:65], -v[68:69]
	v_add_f64 v[2:3], v[2:3], v[70:71]
	v_add_f64 v[49:50], v[14:15], v[49:50]
	;; [unrolled: 1-line block ×3, first 2 shown]
	v_fma_f64 v[14:15], v[49:50], s[4:5], v[10:11]
	v_fma_f64 v[10:11], v[45:46], s[14:15], v[43:44]
	v_add_f64 v[43:44], v[64:65], v[22:23]
	v_add_f64 v[22:23], v[70:71], -v[22:23]
	v_add_f64 v[70:71], v[30:31], -v[32:33]
	v_fma_f64 v[10:11], v[47:48], s[6:7], v[10:11]
	v_fma_f64 v[43:44], v[43:44], -0.5, v[18:19]
	v_fma_f64 v[10:11], v[49:50], s[4:5], v[10:11]
	v_fma_f64 v[18:19], v[47:48], s[14:15], v[43:44]
	;; [unrolled: 1-line block ×3, first 2 shown]
	v_add_f64 v[49:50], v[68:69], -v[64:65]
	v_add_f64 v[64:65], v[86:87], -v[82:83]
	;; [unrolled: 1-line block ×3, first 2 shown]
	v_fma_f64 v[18:19], v[45:46], s[8:9], v[18:19]
	v_fma_f64 v[43:44], v[45:46], s[6:7], v[43:44]
	v_add_f64 v[45:46], v[76:77], v[80:81]
	v_add_f64 v[22:23], v[49:50], v[22:23]
	v_add_f64 v[49:50], v[74:75], -v[86:87]
	v_add_f64 v[62:63], v[62:63], v[64:65]
	v_add_f64 v[64:65], v[78:79], -v[74:75]
	v_fma_f64 v[45:46], v[45:46], -0.5, v[24:25]
	v_fma_f64 v[18:19], v[22:23], s[4:5], v[18:19]
	v_fma_f64 v[22:23], v[22:23], s[4:5], v[43:44]
	v_add_f64 v[43:44], v[24:25], v[72:73]
	v_add_f64 v[64:65], v[64:65], v[66:67]
	v_add_f64 v[66:67], v[28:29], -v[34:35]
	v_fma_f64 v[47:48], v[49:50], s[14:15], v[45:46]
	v_fma_f64 v[45:46], v[49:50], s[2:3], v[45:46]
	v_add_f64 v[43:44], v[43:44], v[76:77]
	v_fma_f64 v[47:48], v[53:54], s[6:7], v[47:48]
	v_fma_f64 v[45:46], v[53:54], s[8:9], v[45:46]
	v_add_f64 v[43:44], v[43:44], v[80:81]
	;; [unrolled: 3-line block ×3, first 2 shown]
	v_add_f64 v[72:73], v[88:89], -v[41:42]
	v_add_f64 v[43:44], v[43:44], v[84:85]
	v_fma_f64 v[45:46], v[45:46], -0.5, v[24:25]
	v_add_f64 v[68:69], v[68:69], v[72:73]
	v_add_f64 v[72:73], v[38:39], -v[36:37]
	v_fma_f64 v[24:25], v[53:54], s[2:3], v[45:46]
	v_fma_f64 v[45:46], v[53:54], s[14:15], v[45:46]
	;; [unrolled: 1-line block ×4, first 2 shown]
	v_add_f64 v[49:50], v[78:79], v[82:83]
	v_fma_f64 v[24:25], v[55:56], s[4:5], v[24:25]
	v_fma_f64 v[55:56], v[55:56], s[4:5], v[45:46]
	v_fma_f64 v[53:54], v[49:50], -0.5, v[26:27]
	v_add_f64 v[45:46], v[26:27], v[74:75]
	v_fma_f64 v[49:50], v[57:58], s[2:3], v[53:54]
	v_fma_f64 v[53:54], v[57:58], s[14:15], v[53:54]
	v_add_f64 v[45:46], v[45:46], v[78:79]
	v_fma_f64 v[49:50], v[60:61], s[8:9], v[49:50]
	v_fma_f64 v[53:54], v[60:61], s[6:7], v[53:54]
	;; [unrolled: 3-line block ×3, first 2 shown]
	v_add_f64 v[62:63], v[74:75], v[86:87]
	v_add_f64 v[74:75], v[41:42], -v[88:89]
	v_add_f64 v[45:46], v[45:46], v[86:87]
	v_fma_f64 v[62:63], v[62:63], -0.5, v[26:27]
	v_add_f64 v[72:73], v[72:73], v[74:75]
	v_add_f64 v[74:75], v[34:35], -v[32:33]
	v_fma_f64 v[26:27], v[60:61], s[14:15], v[62:63]
	v_fma_f64 v[60:61], v[60:61], s[2:3], v[62:63]
	v_add_f64 v[62:63], v[38:39], v[41:42]
	v_fma_f64 v[26:27], v[57:58], s[8:9], v[26:27]
	v_fma_f64 v[57:58], v[57:58], s[6:7], v[60:61]
	v_fma_f64 v[62:63], v[62:63], -0.5, v[4:5]
	v_add_f64 v[60:61], v[4:5], v[36:37]
	v_fma_f64 v[26:27], v[64:65], s[4:5], v[26:27]
	v_fma_f64 v[57:58], v[64:65], s[4:5], v[57:58]
	;; [unrolled: 1-line block ×4, first 2 shown]
	v_add_f64 v[60:61], v[60:61], v[38:39]
	v_add_f64 v[38:39], v[38:39], -v[41:42]
	v_fma_f64 v[64:65], v[70:71], s[6:7], v[64:65]
	v_fma_f64 v[62:63], v[70:71], s[8:9], v[62:63]
	v_add_f64 v[60:61], v[60:61], v[41:42]
	v_fma_f64 v[64:65], v[68:69], s[4:5], v[64:65]
	v_fma_f64 v[68:69], v[68:69], s[4:5], v[62:63]
	v_add_f64 v[62:63], v[36:37], v[88:89]
	v_add_f64 v[36:37], v[36:37], -v[88:89]
	v_add_f64 v[60:61], v[60:61], v[88:89]
	v_fma_f64 v[62:63], v[62:63], -0.5, v[4:5]
	v_fma_f64 v[4:5], v[70:71], s[2:3], v[62:63]
	v_fma_f64 v[62:63], v[70:71], s[14:15], v[62:63]
	;; [unrolled: 1-line block ×4, first 2 shown]
	v_add_f64 v[66:67], v[30:31], v[32:33]
	v_fma_f64 v[4:5], v[72:73], s[4:5], v[4:5]
	v_fma_f64 v[72:73], v[72:73], s[4:5], v[62:63]
	v_fma_f64 v[70:71], v[66:67], -0.5, v[6:7]
	v_add_f64 v[62:63], v[6:7], v[28:29]
	v_fma_f64 v[66:67], v[36:37], s[2:3], v[70:71]
	v_add_f64 v[62:63], v[62:63], v[30:31]
	v_fma_f64 v[41:42], v[38:39], s[8:9], v[66:67]
	v_add_f64 v[66:67], v[28:29], -v[30:31]
	v_add_f64 v[62:63], v[62:63], v[32:33]
	v_add_f64 v[74:75], v[66:67], v[74:75]
	;; [unrolled: 1-line block ×3, first 2 shown]
	v_fma_f64 v[66:67], v[74:75], s[4:5], v[41:42]
	v_fma_f64 v[41:42], v[36:37], s[14:15], v[70:71]
	;; [unrolled: 1-line block ×4, first 2 shown]
	v_add_f64 v[41:42], v[28:29], v[34:35]
	v_add_f64 v[28:29], v[30:31], -v[28:29]
	v_add_f64 v[30:31], v[32:33], -v[34:35]
	v_fma_f64 v[41:42], v[41:42], -0.5, v[6:7]
	v_add_f64 v[28:29], v[28:29], v[30:31]
	v_fma_f64 v[6:7], v[38:39], s[14:15], v[41:42]
	v_fma_f64 v[30:31], v[38:39], s[2:3], v[41:42]
	s_mov_b32 s2, 0x9cbd821e
	s_mov_b32 s3, 0x3f4179ec
	v_fma_f64 v[6:7], v[36:37], s[8:9], v[6:7]
	v_fma_f64 v[30:31], v[36:37], s[6:7], v[30:31]
	v_fma_f64 v[6:7], v[28:29], s[4:5], v[6:7]
	v_fma_f64 v[74:75], v[28:29], s[4:5], v[30:31]
	ds_write_b128 v40, v[0:3]
	ds_write_b128 v40, v[12:15] offset:2000
	ds_write_b128 v40, v[16:19] offset:4000
	;; [unrolled: 1-line block ×14, first 2 shown]
	s_waitcnt lgkmcnt(0)
	s_barrier
	buffer_gl0_inv
	ds_read_b128 v[0:3], v40
	ds_read_b128 v[4:7], v40 offset:10000
	ds_read_b128 v[8:11], v40 offset:20000
	;; [unrolled: 1-line block ×14, first 2 shown]
	s_mul_i32 s4, s1, 0x1770
	s_mul_hi_u32 s5, s0, 0x1770
	s_add_i32 s4, s5, s4
	s_mul_i32 s5, s0, 0x1770
	s_waitcnt lgkmcnt(13)
	v_mul_f64 v[61:62], v[194:195], v[6:7]
	v_fma_f64 v[61:62], v[192:193], v[4:5], v[61:62]
	v_mul_f64 v[4:5], v[194:195], v[4:5]
	v_fma_f64 v[63:64], v[192:193], v[6:7], -v[4:5]
	s_waitcnt lgkmcnt(12)
	v_mul_f64 v[4:5], v[190:191], v[10:11]
	v_fma_f64 v[65:66], v[188:189], v[8:9], v[4:5]
	v_mul_f64 v[4:5], v[190:191], v[8:9]
	v_add_f64 v[6:7], v[61:62], v[65:66]
	v_fma_f64 v[10:11], v[188:189], v[10:11], -v[4:5]
	s_waitcnt lgkmcnt(10)
	v_mul_f64 v[4:5], v[202:203], v[18:19]
	v_fma_f64 v[6:7], v[6:7], -0.5, v[0:1]
	v_add_f64 v[8:9], v[63:64], -v[10:11]
	v_fma_f64 v[67:68], v[200:201], v[16:17], v[4:5]
	v_mul_f64 v[4:5], v[202:203], v[16:17]
	v_add_f64 v[16:17], v[61:62], -v[65:66]
	v_fma_f64 v[69:70], v[200:201], v[18:19], -v[4:5]
	s_waitcnt lgkmcnt(9)
	v_mul_f64 v[4:5], v[198:199], v[22:23]
	v_fma_f64 v[71:72], v[196:197], v[20:21], v[4:5]
	v_mul_f64 v[4:5], v[198:199], v[20:21]
	v_add_f64 v[18:19], v[67:68], v[71:72]
	v_fma_f64 v[22:23], v[196:197], v[22:23], -v[4:5]
	s_waitcnt lgkmcnt(7)
	v_mul_f64 v[4:5], v[210:211], v[30:31]
	v_fma_f64 v[18:19], v[18:19], -0.5, v[12:13]
	v_add_f64 v[20:21], v[69:70], -v[22:23]
	v_fma_f64 v[73:74], v[208:209], v[28:29], v[4:5]
	v_mul_f64 v[4:5], v[210:211], v[28:29]
	v_add_f64 v[28:29], v[67:68], -v[71:72]
	;; [unrolled: 14-line block ×4, first 2 shown]
	v_fma_f64 v[87:88], v[224:225], v[55:56], -v[4:5]
	s_waitcnt lgkmcnt(0)
	v_mul_f64 v[4:5], v[222:223], v[59:60]
	v_fma_f64 v[89:90], v[220:221], v[57:58], v[4:5]
	v_mul_f64 v[4:5], v[222:223], v[57:58]
	v_add_f64 v[55:56], v[85:86], v[89:90]
	v_fma_f64 v[59:60], v[220:221], v[59:60], -v[4:5]
	v_add_f64 v[4:5], v[0:1], v[61:62]
	v_fma_f64 v[0:1], v[8:9], s[16:17], v[6:7]
	v_fma_f64 v[8:9], v[8:9], s[10:11], v[6:7]
	v_add_f64 v[6:7], v[2:3], v[63:64]
	v_add_f64 v[61:62], v[85:86], -v[89:90]
	v_fma_f64 v[55:56], v[55:56], -0.5, v[49:50]
	v_add_f64 v[57:58], v[87:88], -v[59:60]
	v_add_f64 v[4:5], v[4:5], v[65:66]
	v_add_f64 v[6:7], v[6:7], v[10:11]
	v_add_f64 v[10:11], v[63:64], v[10:11]
	v_fma_f64 v[10:11], v[10:11], -0.5, v[2:3]
	v_fma_f64 v[2:3], v[16:17], s[10:11], v[10:11]
	v_fma_f64 v[10:11], v[16:17], s[16:17], v[10:11]
	v_add_f64 v[16:17], v[12:13], v[67:68]
	v_fma_f64 v[12:13], v[20:21], s[16:17], v[18:19]
	v_fma_f64 v[20:21], v[20:21], s[10:11], v[18:19]
	v_add_f64 v[18:19], v[14:15], v[69:70]
	v_add_f64 v[16:17], v[16:17], v[71:72]
	v_add_f64 v[18:19], v[18:19], v[22:23]
	v_add_f64 v[22:23], v[69:70], v[22:23]
	v_fma_f64 v[22:23], v[22:23], -0.5, v[14:15]
	v_fma_f64 v[14:15], v[28:29], s[10:11], v[22:23]
	v_fma_f64 v[22:23], v[28:29], s[16:17], v[22:23]
	v_add_f64 v[28:29], v[24:25], v[73:74]
	v_fma_f64 v[24:25], v[32:33], s[16:17], v[30:31]
	v_fma_f64 v[32:33], v[32:33], s[10:11], v[30:31]
	v_add_f64 v[30:31], v[26:27], v[75:76]
	v_add_f64 v[28:29], v[28:29], v[77:78]
	v_add_f64 v[30:31], v[30:31], v[34:35]
	v_add_f64 v[34:35], v[75:76], v[34:35]
	v_fma_f64 v[34:35], v[34:35], -0.5, v[26:27]
	v_fma_f64 v[26:27], v[41:42], s[10:11], v[34:35]
	v_fma_f64 v[34:35], v[41:42], s[16:17], v[34:35]
	v_add_f64 v[41:42], v[36:37], v[79:80]
	v_fma_f64 v[36:37], v[45:46], s[16:17], v[43:44]
	v_fma_f64 v[45:46], v[45:46], s[10:11], v[43:44]
	v_add_f64 v[43:44], v[38:39], v[81:82]
	v_add_f64 v[41:42], v[41:42], v[83:84]
	v_add_f64 v[43:44], v[43:44], v[47:48]
	v_add_f64 v[47:48], v[81:82], v[47:48]
	v_fma_f64 v[47:48], v[47:48], -0.5, v[38:39]
	v_fma_f64 v[38:39], v[53:54], s[10:11], v[47:48]
	v_fma_f64 v[47:48], v[53:54], s[16:17], v[47:48]
	v_add_f64 v[53:54], v[49:50], v[85:86]
	v_fma_f64 v[49:50], v[57:58], s[16:17], v[55:56]
	v_fma_f64 v[57:58], v[57:58], s[10:11], v[55:56]
	v_add_f64 v[55:56], v[51:52], v[87:88]
	v_add_f64 v[53:54], v[53:54], v[89:90]
	v_add_f64 v[55:56], v[55:56], v[59:60]
	;; [unrolled: 1-line block ×3, first 2 shown]
	v_fma_f64 v[59:60], v[59:60], -0.5, v[51:52]
	v_fma_f64 v[51:52], v[61:62], s[10:11], v[59:60]
	v_fma_f64 v[59:60], v[61:62], s[16:17], v[59:60]
	ds_write_b128 v40, v[4:7]
	ds_write_b128 v40, v[0:3] offset:10000
	ds_write_b128 v40, v[8:11] offset:20000
	;; [unrolled: 1-line block ×14, first 2 shown]
	s_waitcnt lgkmcnt(0)
	s_barrier
	buffer_gl0_inv
	ds_read_b128 v[0:3], v40
	s_clause 0x3
	buffer_load_dword v6, off, s[20:23], 0 offset:168
	buffer_load_dword v7, off, s[20:23], 0 offset:172
	;; [unrolled: 1-line block ×4, first 2 shown]
	s_waitcnt vmcnt(0) lgkmcnt(0)
	v_mul_f64 v[4:5], v[8:9], v[2:3]
	v_fma_f64 v[4:5], v[6:7], v[0:1], v[4:5]
	v_mul_f64 v[0:1], v[8:9], v[0:1]
	v_mul_f64 v[4:5], v[4:5], s[2:3]
	v_fma_f64 v[0:1], v[6:7], v[2:3], -v[0:1]
	buffer_load_dword v2, off, s[20:23], 0 offset:260 ; 4-byte Folded Reload
	v_mul_f64 v[6:7], v[0:1], s[2:3]
	s_waitcnt vmcnt(0)
	v_mad_u64_u32 v[0:1], null, s0, v2, 0
	v_mad_u64_u32 v[1:2], null, s1, v2, v[1:2]
	s_clause 0x1
	buffer_load_dword v2, off, s[20:23], 0 offset:160
	buffer_load_dword v3, off, s[20:23], 0 offset:164
	s_mulk_i32 s1, 0xaa10
	s_sub_i32 s1, s1, s0
	v_lshlrev_b64 v[0:1], 4, v[0:1]
	s_waitcnt vmcnt(0)
	v_lshlrev_b64 v[2:3], 4, v[2:3]
	v_add_co_u32 v2, vcc_lo, s12, v2
	v_add_co_ci_u32_e32 v3, vcc_lo, s13, v3, vcc_lo
	v_add_co_u32 v8, vcc_lo, v2, v0
	v_add_co_ci_u32_e32 v9, vcc_lo, v3, v1, vcc_lo
	ds_read_b128 v[0:3], v40 offset:6000
	global_store_dwordx4 v[8:9], v[4:7], off
	s_clause 0x3
	buffer_load_dword v10, off, s[20:23], 0 offset:184
	buffer_load_dword v11, off, s[20:23], 0 offset:188
	buffer_load_dword v12, off, s[20:23], 0 offset:192
	buffer_load_dword v13, off, s[20:23], 0 offset:196
	v_add_co_u32 v8, vcc_lo, v8, s5
	v_add_co_ci_u32_e32 v9, vcc_lo, s4, v9, vcc_lo
	s_waitcnt vmcnt(0) lgkmcnt(0)
	v_mul_f64 v[4:5], v[12:13], v[2:3]
	v_fma_f64 v[4:5], v[10:11], v[0:1], v[4:5]
	v_mul_f64 v[0:1], v[12:13], v[0:1]
	v_mul_f64 v[4:5], v[4:5], s[2:3]
	v_fma_f64 v[0:1], v[10:11], v[2:3], -v[0:1]
	v_mul_f64 v[6:7], v[0:1], s[2:3]
	ds_read_b128 v[0:3], v40 offset:12000
	global_store_dwordx4 v[8:9], v[4:7], off
	s_clause 0x3
	buffer_load_dword v10, off, s[20:23], 0 offset:200
	buffer_load_dword v11, off, s[20:23], 0 offset:204
	buffer_load_dword v12, off, s[20:23], 0 offset:208
	buffer_load_dword v13, off, s[20:23], 0 offset:212
	v_add_co_u32 v8, vcc_lo, v8, s5
	v_add_co_ci_u32_e32 v9, vcc_lo, s4, v9, vcc_lo
	s_waitcnt vmcnt(0) lgkmcnt(0)
	v_mul_f64 v[4:5], v[12:13], v[2:3]
	v_fma_f64 v[4:5], v[10:11], v[0:1], v[4:5]
	v_mul_f64 v[0:1], v[12:13], v[0:1]
	v_mul_f64 v[4:5], v[4:5], s[2:3]
	v_fma_f64 v[0:1], v[10:11], v[2:3], -v[0:1]
	v_mul_f64 v[6:7], v[0:1], s[2:3]
	;; [unrolled: 16-line block ×3, first 2 shown]
	ds_read_b128 v[0:3], v40 offset:24000
	global_store_dwordx4 v[8:9], v[4:7], off
	s_clause 0x3
	buffer_load_dword v10, off, s[20:23], 0 offset:232
	buffer_load_dword v11, off, s[20:23], 0 offset:236
	;; [unrolled: 1-line block ×4, first 2 shown]
	s_waitcnt vmcnt(0) lgkmcnt(0)
	v_mul_f64 v[4:5], v[12:13], v[2:3]
	v_fma_f64 v[4:5], v[10:11], v[0:1], v[4:5]
	v_mul_f64 v[0:1], v[12:13], v[0:1]
	v_mul_f64 v[4:5], v[4:5], s[2:3]
	v_fma_f64 v[0:1], v[10:11], v[2:3], -v[0:1]
	v_mul_f64 v[6:7], v[0:1], s[2:3]
	v_add_co_u32 v0, vcc_lo, v8, s5
	v_add_co_ci_u32_e32 v1, vcc_lo, s4, v9, vcc_lo
	global_store_dwordx4 v[0:1], v[4:7], off
	ds_read_b128 v[2:5], v40 offset:2000
	s_clause 0x3
	buffer_load_dword v8, off, s[20:23], 0 offset:80
	buffer_load_dword v9, off, s[20:23], 0 offset:84
	;; [unrolled: 1-line block ×4, first 2 shown]
	s_waitcnt vmcnt(0) lgkmcnt(0)
	v_mul_f64 v[6:7], v[10:11], v[4:5]
	v_fma_f64 v[6:7], v[8:9], v[2:3], v[6:7]
	v_mul_f64 v[2:3], v[10:11], v[2:3]
	v_mad_u64_u32 v[10:11], null, 0xffffaa10, s0, v[0:1]
	v_add_nc_u32_e32 v11, s1, v11
	v_mul_f64 v[6:7], v[6:7], s[2:3]
	v_fma_f64 v[2:3], v[8:9], v[4:5], -v[2:3]
	v_mul_f64 v[8:9], v[2:3], s[2:3]
	ds_read_b128 v[0:3], v40 offset:8000
	global_store_dwordx4 v[10:11], v[6:9], off
	s_clause 0x3
	buffer_load_dword v6, off, s[20:23], 0 offset:96
	buffer_load_dword v7, off, s[20:23], 0 offset:100
	;; [unrolled: 1-line block ×4, first 2 shown]
	s_waitcnt vmcnt(0) lgkmcnt(0)
	v_mul_f64 v[4:5], v[8:9], v[2:3]
	v_fma_f64 v[4:5], v[6:7], v[0:1], v[4:5]
	v_mul_f64 v[0:1], v[8:9], v[0:1]
	v_add_co_u32 v8, vcc_lo, v10, s5
	v_add_co_ci_u32_e32 v9, vcc_lo, s4, v11, vcc_lo
	v_mul_f64 v[4:5], v[4:5], s[2:3]
	v_fma_f64 v[0:1], v[6:7], v[2:3], -v[0:1]
	v_mul_f64 v[6:7], v[0:1], s[2:3]
	ds_read_b128 v[0:3], v40 offset:14000
	global_store_dwordx4 v[8:9], v[4:7], off
	s_clause 0x3
	buffer_load_dword v10, off, s[20:23], 0 offset:112
	buffer_load_dword v11, off, s[20:23], 0 offset:116
	buffer_load_dword v12, off, s[20:23], 0 offset:120
	buffer_load_dword v13, off, s[20:23], 0 offset:124
	v_add_co_u32 v8, vcc_lo, v8, s5
	v_add_co_ci_u32_e32 v9, vcc_lo, s4, v9, vcc_lo
	s_waitcnt vmcnt(0) lgkmcnt(0)
	v_mul_f64 v[4:5], v[12:13], v[2:3]
	v_fma_f64 v[4:5], v[10:11], v[0:1], v[4:5]
	v_mul_f64 v[0:1], v[12:13], v[0:1]
	v_mul_f64 v[4:5], v[4:5], s[2:3]
	v_fma_f64 v[0:1], v[10:11], v[2:3], -v[0:1]
	v_mul_f64 v[6:7], v[0:1], s[2:3]
	ds_read_b128 v[0:3], v40 offset:20000
	global_store_dwordx4 v[8:9], v[4:7], off
	s_clause 0x3
	buffer_load_dword v10, off, s[20:23], 0 offset:128
	buffer_load_dword v11, off, s[20:23], 0 offset:132
	buffer_load_dword v12, off, s[20:23], 0 offset:136
	buffer_load_dword v13, off, s[20:23], 0 offset:140
	v_add_co_u32 v8, vcc_lo, v8, s5
	v_add_co_ci_u32_e32 v9, vcc_lo, s4, v9, vcc_lo
	s_waitcnt vmcnt(0) lgkmcnt(0)
	v_mul_f64 v[4:5], v[12:13], v[2:3]
	v_fma_f64 v[4:5], v[10:11], v[0:1], v[4:5]
	v_mul_f64 v[0:1], v[12:13], v[0:1]
	;; [unrolled: 16-line block ×3, first 2 shown]
	v_mul_f64 v[4:5], v[4:5], s[2:3]
	v_fma_f64 v[0:1], v[10:11], v[2:3], -v[0:1]
	v_mul_f64 v[6:7], v[0:1], s[2:3]
	ds_read_b128 v[0:3], v40 offset:4000
	global_store_dwordx4 v[8:9], v[4:7], off
	s_clause 0x3
	buffer_load_dword v10, off, s[20:23], 0 offset:48
	buffer_load_dword v11, off, s[20:23], 0 offset:52
	;; [unrolled: 1-line block ×4, first 2 shown]
	v_mad_u64_u32 v[8:9], null, 0xffffaa10, s0, v[8:9]
	v_add_nc_u32_e32 v9, s1, v9
	s_waitcnt vmcnt(0) lgkmcnt(0)
	v_mul_f64 v[4:5], v[12:13], v[2:3]
	v_fma_f64 v[4:5], v[10:11], v[0:1], v[4:5]
	v_mul_f64 v[0:1], v[12:13], v[0:1]
	v_mul_f64 v[4:5], v[4:5], s[2:3]
	v_fma_f64 v[0:1], v[10:11], v[2:3], -v[0:1]
	v_mul_f64 v[6:7], v[0:1], s[2:3]
	ds_read_b128 v[0:3], v40 offset:10000
	global_store_dwordx4 v[8:9], v[4:7], off
	s_clause 0x3
	buffer_load_dword v10, off, s[20:23], 0 offset:64
	buffer_load_dword v11, off, s[20:23], 0 offset:68
	buffer_load_dword v12, off, s[20:23], 0 offset:72
	buffer_load_dword v13, off, s[20:23], 0 offset:76
	v_add_co_u32 v8, vcc_lo, v8, s5
	v_add_co_ci_u32_e32 v9, vcc_lo, s4, v9, vcc_lo
	s_waitcnt vmcnt(0) lgkmcnt(0)
	v_mul_f64 v[4:5], v[12:13], v[2:3]
	v_fma_f64 v[4:5], v[10:11], v[0:1], v[4:5]
	v_mul_f64 v[0:1], v[12:13], v[0:1]
	v_mul_f64 v[4:5], v[4:5], s[2:3]
	v_fma_f64 v[0:1], v[10:11], v[2:3], -v[0:1]
	v_mul_f64 v[6:7], v[0:1], s[2:3]
	ds_read_b128 v[0:3], v40 offset:16000
	global_store_dwordx4 v[8:9], v[4:7], off
	s_clause 0x3
	buffer_load_dword v10, off, s[20:23], 0 offset:32
	buffer_load_dword v11, off, s[20:23], 0 offset:36
	buffer_load_dword v12, off, s[20:23], 0 offset:40
	buffer_load_dword v13, off, s[20:23], 0 offset:44
	v_add_co_u32 v8, vcc_lo, v8, s5
	v_add_co_ci_u32_e32 v9, vcc_lo, s4, v9, vcc_lo
	;; [unrolled: 16-line block ×3, first 2 shown]
	s_waitcnt vmcnt(0) lgkmcnt(0)
	v_mul_f64 v[4:5], v[12:13], v[2:3]
	v_fma_f64 v[4:5], v[10:11], v[0:1], v[4:5]
	v_mul_f64 v[0:1], v[12:13], v[0:1]
	v_mul_f64 v[4:5], v[4:5], s[2:3]
	v_fma_f64 v[0:1], v[10:11], v[2:3], -v[0:1]
	v_mul_f64 v[6:7], v[0:1], s[2:3]
	ds_read_b128 v[0:3], v40 offset:28000
	global_store_dwordx4 v[8:9], v[4:7], off
	s_clause 0x3
	buffer_load_dword v10, off, s[20:23], 0
	buffer_load_dword v11, off, s[20:23], 0 offset:4
	buffer_load_dword v12, off, s[20:23], 0 offset:8
	;; [unrolled: 1-line block ×3, first 2 shown]
	s_waitcnt vmcnt(0) lgkmcnt(0)
	v_mul_f64 v[4:5], v[12:13], v[2:3]
	v_fma_f64 v[4:5], v[10:11], v[0:1], v[4:5]
	v_mul_f64 v[0:1], v[12:13], v[0:1]
	v_mul_f64 v[4:5], v[4:5], s[2:3]
	v_fma_f64 v[0:1], v[10:11], v[2:3], -v[0:1]
	v_mul_f64 v[6:7], v[0:1], s[2:3]
	v_add_co_u32 v0, vcc_lo, v8, s5
	v_add_co_ci_u32_e32 v1, vcc_lo, s4, v9, vcc_lo
	global_store_dwordx4 v[0:1], v[4:7], off
.LBB0_2:
	s_endpgm
	.section	.rodata,"a",@progbits
	.p2align	6, 0x0
	.amdhsa_kernel bluestein_single_back_len1875_dim1_dp_op_CI_CI
		.amdhsa_group_segment_fixed_size 60000
		.amdhsa_private_segment_fixed_size 272
		.amdhsa_kernarg_size 104
		.amdhsa_user_sgpr_count 6
		.amdhsa_user_sgpr_private_segment_buffer 1
		.amdhsa_user_sgpr_dispatch_ptr 0
		.amdhsa_user_sgpr_queue_ptr 0
		.amdhsa_user_sgpr_kernarg_segment_ptr 1
		.amdhsa_user_sgpr_dispatch_id 0
		.amdhsa_user_sgpr_flat_scratch_init 0
		.amdhsa_user_sgpr_private_segment_size 0
		.amdhsa_wavefront_size32 1
		.amdhsa_uses_dynamic_stack 0
		.amdhsa_system_sgpr_private_segment_wavefront_offset 1
		.amdhsa_system_sgpr_workgroup_id_x 1
		.amdhsa_system_sgpr_workgroup_id_y 0
		.amdhsa_system_sgpr_workgroup_id_z 0
		.amdhsa_system_sgpr_workgroup_info 0
		.amdhsa_system_vgpr_workitem_id 0
		.amdhsa_next_free_vgpr 256
		.amdhsa_next_free_sgpr 24
		.amdhsa_reserve_vcc 1
		.amdhsa_reserve_flat_scratch 0
		.amdhsa_float_round_mode_32 0
		.amdhsa_float_round_mode_16_64 0
		.amdhsa_float_denorm_mode_32 3
		.amdhsa_float_denorm_mode_16_64 3
		.amdhsa_dx10_clamp 1
		.amdhsa_ieee_mode 1
		.amdhsa_fp16_overflow 0
		.amdhsa_workgroup_processor_mode 1
		.amdhsa_memory_ordered 1
		.amdhsa_forward_progress 0
		.amdhsa_shared_vgpr_count 0
		.amdhsa_exception_fp_ieee_invalid_op 0
		.amdhsa_exception_fp_denorm_src 0
		.amdhsa_exception_fp_ieee_div_zero 0
		.amdhsa_exception_fp_ieee_overflow 0
		.amdhsa_exception_fp_ieee_underflow 0
		.amdhsa_exception_fp_ieee_inexact 0
		.amdhsa_exception_int_div_zero 0
	.end_amdhsa_kernel
	.text
.Lfunc_end0:
	.size	bluestein_single_back_len1875_dim1_dp_op_CI_CI, .Lfunc_end0-bluestein_single_back_len1875_dim1_dp_op_CI_CI
                                        ; -- End function
	.section	.AMDGPU.csdata,"",@progbits
; Kernel info:
; codeLenInByte = 24428
; NumSgprs: 26
; NumVgprs: 256
; ScratchSize: 272
; MemoryBound: 0
; FloatMode: 240
; IeeeMode: 1
; LDSByteSize: 60000 bytes/workgroup (compile time only)
; SGPRBlocks: 3
; VGPRBlocks: 31
; NumSGPRsForWavesPerEU: 26
; NumVGPRsForWavesPerEU: 256
; Occupancy: 4
; WaveLimiterHint : 1
; COMPUTE_PGM_RSRC2:SCRATCH_EN: 1
; COMPUTE_PGM_RSRC2:USER_SGPR: 6
; COMPUTE_PGM_RSRC2:TRAP_HANDLER: 0
; COMPUTE_PGM_RSRC2:TGID_X_EN: 1
; COMPUTE_PGM_RSRC2:TGID_Y_EN: 0
; COMPUTE_PGM_RSRC2:TGID_Z_EN: 0
; COMPUTE_PGM_RSRC2:TIDIG_COMP_CNT: 0
	.text
	.p2alignl 6, 3214868480
	.fill 48, 4, 3214868480
	.type	__hip_cuid_570eeca1125604d5,@object ; @__hip_cuid_570eeca1125604d5
	.section	.bss,"aw",@nobits
	.globl	__hip_cuid_570eeca1125604d5
__hip_cuid_570eeca1125604d5:
	.byte	0                               ; 0x0
	.size	__hip_cuid_570eeca1125604d5, 1

	.ident	"AMD clang version 19.0.0git (https://github.com/RadeonOpenCompute/llvm-project roc-6.4.0 25133 c7fe45cf4b819c5991fe208aaa96edf142730f1d)"
	.section	".note.GNU-stack","",@progbits
	.addrsig
	.addrsig_sym __hip_cuid_570eeca1125604d5
	.amdgpu_metadata
---
amdhsa.kernels:
  - .args:
      - .actual_access:  read_only
        .address_space:  global
        .offset:         0
        .size:           8
        .value_kind:     global_buffer
      - .actual_access:  read_only
        .address_space:  global
        .offset:         8
        .size:           8
        .value_kind:     global_buffer
      - .actual_access:  read_only
        .address_space:  global
        .offset:         16
        .size:           8
        .value_kind:     global_buffer
      - .actual_access:  read_only
        .address_space:  global
        .offset:         24
        .size:           8
        .value_kind:     global_buffer
      - .actual_access:  read_only
        .address_space:  global
        .offset:         32
        .size:           8
        .value_kind:     global_buffer
      - .offset:         40
        .size:           8
        .value_kind:     by_value
      - .address_space:  global
        .offset:         48
        .size:           8
        .value_kind:     global_buffer
      - .address_space:  global
        .offset:         56
        .size:           8
        .value_kind:     global_buffer
      - .address_space:  global
        .offset:         64
        .size:           8
        .value_kind:     global_buffer
      - .address_space:  global
        .offset:         72
        .size:           8
        .value_kind:     global_buffer
      - .offset:         80
        .size:           4
        .value_kind:     by_value
      - .address_space:  global
        .offset:         88
        .size:           8
        .value_kind:     global_buffer
      - .address_space:  global
        .offset:         96
        .size:           8
        .value_kind:     global_buffer
    .group_segment_fixed_size: 60000
    .kernarg_segment_align: 8
    .kernarg_segment_size: 104
    .language:       OpenCL C
    .language_version:
      - 2
      - 0
    .max_flat_workgroup_size: 250
    .name:           bluestein_single_back_len1875_dim1_dp_op_CI_CI
    .private_segment_fixed_size: 272
    .sgpr_count:     26
    .sgpr_spill_count: 0
    .symbol:         bluestein_single_back_len1875_dim1_dp_op_CI_CI.kd
    .uniform_work_group_size: 1
    .uses_dynamic_stack: false
    .vgpr_count:     256
    .vgpr_spill_count: 67
    .wavefront_size: 32
    .workgroup_processor_mode: 1
amdhsa.target:   amdgcn-amd-amdhsa--gfx1030
amdhsa.version:
  - 1
  - 2
...

	.end_amdgpu_metadata
